;; amdgpu-corpus repo=ROCm/rocSPARSE kind=compiled arch=gfx950 opt=O3
	.amdgcn_target "amdgcn-amd-amdhsa--gfx950"
	.amdhsa_code_object_version 6
	.section	.text._ZN9rocsparseL30bellmm_general_blockdim_kernelILi32ELi32EiiiiiEEv20rocsparse_operation_S1_20rocsparse_direction_T2_S3_NS_24const_host_device_scalarIT1_EES3_S3_PKS3_PKT3_PKT4_l16rocsparse_order_S6_PT5_lSF_21rocsparse_index_base_b,"axG",@progbits,_ZN9rocsparseL30bellmm_general_blockdim_kernelILi32ELi32EiiiiiEEv20rocsparse_operation_S1_20rocsparse_direction_T2_S3_NS_24const_host_device_scalarIT1_EES3_S3_PKS3_PKT3_PKT4_l16rocsparse_order_S6_PT5_lSF_21rocsparse_index_base_b,comdat
	.globl	_ZN9rocsparseL30bellmm_general_blockdim_kernelILi32ELi32EiiiiiEEv20rocsparse_operation_S1_20rocsparse_direction_T2_S3_NS_24const_host_device_scalarIT1_EES3_S3_PKS3_PKT3_PKT4_l16rocsparse_order_S6_PT5_lSF_21rocsparse_index_base_b ; -- Begin function _ZN9rocsparseL30bellmm_general_blockdim_kernelILi32ELi32EiiiiiEEv20rocsparse_operation_S1_20rocsparse_direction_T2_S3_NS_24const_host_device_scalarIT1_EES3_S3_PKS3_PKT3_PKT4_l16rocsparse_order_S6_PT5_lSF_21rocsparse_index_base_b
	.p2align	8
	.type	_ZN9rocsparseL30bellmm_general_blockdim_kernelILi32ELi32EiiiiiEEv20rocsparse_operation_S1_20rocsparse_direction_T2_S3_NS_24const_host_device_scalarIT1_EES3_S3_PKS3_PKT3_PKT4_l16rocsparse_order_S6_PT5_lSF_21rocsparse_index_base_b,@function
_ZN9rocsparseL30bellmm_general_blockdim_kernelILi32ELi32EiiiiiEEv20rocsparse_operation_S1_20rocsparse_direction_T2_S3_NS_24const_host_device_scalarIT1_EES3_S3_PKS3_PKT3_PKT4_l16rocsparse_order_S6_PT5_lSF_21rocsparse_index_base_b: ; @_ZN9rocsparseL30bellmm_general_blockdim_kernelILi32ELi32EiiiiiEEv20rocsparse_operation_S1_20rocsparse_direction_T2_S3_NS_24const_host_device_scalarIT1_EES3_S3_PKS3_PKT3_PKT4_l16rocsparse_order_S6_PT5_lSF_21rocsparse_index_base_b
; %bb.0:
	s_load_dwordx4 s[20:23], s[0:1], 0x68
	s_load_dwordx2 s[8:9], s[0:1], 0x18
	s_mov_b64 s[10:11], -1
                                        ; implicit-def: $sgpr33
	s_waitcnt lgkmcnt(0)
	s_bitcmp1_b32 s22, 0
	s_cselect_b64 s[4:5], -1, 0
	s_xor_b64 s[6:7], s[4:5], -1
	s_and_b64 vcc, exec, s[6:7]
	s_cbranch_vccnz .LBB0_4
; %bb.1:
	s_load_dwordx2 s[4:5], s[0:1], 0x50
	s_andn2_b64 vcc, exec, s[10:11]
	s_cbranch_vccz .LBB0_5
.LBB0_2:
	s_and_b64 vcc, exec, s[6:7]
	s_cbranch_vccz .LBB0_6
.LBB0_3:
	s_waitcnt lgkmcnt(0)
	s_load_dword s48, s[4:5], 0x0
	s_cbranch_execz .LBB0_7
	s_branch .LBB0_8
.LBB0_4:
	s_load_dword s33, s[8:9], 0x0
	s_load_dwordx2 s[4:5], s[0:1], 0x50
	s_cbranch_execnz .LBB0_2
.LBB0_5:
	s_waitcnt lgkmcnt(0)
	s_mov_b32 s33, s8
	s_and_b64 vcc, exec, s[6:7]
	s_cbranch_vccnz .LBB0_3
.LBB0_6:
                                        ; implicit-def: $sgpr48
.LBB0_7:
	s_waitcnt lgkmcnt(0)
	s_mov_b32 s48, s4
.LBB0_8:
	s_waitcnt lgkmcnt(0)
	s_cmp_eq_u32 s33, 0
	s_cselect_b64 s[4:5], -1, 0
	s_cmp_eq_u32 s48, 1
	s_cselect_b64 s[6:7], -1, 0
	s_and_b64 s[4:5], s[4:5], s[6:7]
	s_mov_b32 s49, 0
	s_and_b64 vcc, exec, s[4:5]
	s_cbranch_vccnz .LBB0_48
; %bb.9:
	s_load_dwordx4 s[8:11], s[0:1], 0x4
	s_load_dwordx2 s[22:23], s[0:1], 0x20
	s_waitcnt lgkmcnt(0)
	s_cmp_lt_i32 s2, s10
	s_cselect_b64 s[4:5], -1, 0
	s_cmp_ge_i32 s2, s10
	s_cbranch_scc1 .LBB0_11
; %bb.10:
	s_abs_i32 s6, s23
	v_cvt_f32_u32_e32 v1, s6
	s_sub_i32 s13, 0, s6
	s_abs_i32 s12, s22
	s_xor_b32 s7, s22, s23
	v_rcp_iflag_f32_e32 v1, v1
	s_ashr_i32 s7, s7, 31
	v_mul_f32_e32 v1, 0x4f7ffffe, v1
	v_cvt_u32_f32_e32 v1, v1
	s_nop 0
	v_readfirstlane_b32 s14, v1
	s_mul_i32 s13, s13, s14
	s_mul_hi_u32 s13, s14, s13
	s_add_i32 s14, s14, s13
	s_mul_hi_u32 s13, s12, s14
	s_mul_i32 s14, s13, s6
	s_sub_i32 s12, s12, s14
	s_add_i32 s15, s13, 1
	s_sub_i32 s14, s12, s6
	s_cmp_ge_u32 s12, s6
	s_cselect_b32 s13, s15, s13
	s_cselect_b32 s12, s14, s12
	s_add_i32 s14, s13, 1
	s_cmp_ge_u32 s12, s6
	s_cselect_b32 s6, s14, s13
	s_xor_b32 s6, s6, s7
	s_sub_i32 s49, s6, s7
.LBB0_11:
	s_cmp_lt_i32 s23, 1
	s_cbranch_scc1 .LBB0_48
; %bb.12:
	s_load_dwordx8 s[12:19], s[0:1], 0x28
	s_load_dwordx4 s[24:27], s[0:1], 0x58
	s_load_dword s28, s[0:1], 0x48
	v_bfe_u32 v14, v0, 10, 10
	v_lshl_add_u32 v2, s3, 5, v14
	s_cmp_gt_i32 s49, 0
	v_ashrrev_i32_e32 v3, 31, v2
	s_cselect_b64 s[6:7], -1, 0
	s_cmpk_eq_i32 s8, 0x6f
	v_and_b32_e32 v15, 0x3ff, v0
	s_waitcnt lgkmcnt(0)
	v_mul_lo_u32 v0, s18, v3
	v_mul_lo_u32 v1, s19, v2
	v_mad_u64_u32 v[4:5], s[0:1], s18, v2, 0
	s_cselect_b64 s[36:37], -1, 0
	s_cmp_lg_u32 s28, 1
	v_add3_u32 v5, v5, v0, v1
	s_cselect_b64 s[38:39], -1, 0
	s_cmp_lg_u32 s9, 0
	v_lshl_add_u64 v[0:1], v[2:3], 2, s[16:17]
	v_cmp_gt_i32_e64 s[0:1], s11, v2
	v_lshl_add_u64 v[4:5], v[4:5], 2, s[16:17]
	s_cselect_b64 s[16:17], -1, 0
	s_cmp_lg_u32 s20, 1
	s_mul_i32 s3, s23, s2
	s_cselect_b64 s[28:29], -1, 0
	v_mul_lo_u32 v9, s26, v3
	v_mul_lo_u32 v10, s27, v2
	v_mad_u64_u32 v[6:7], s[8:9], s26, v2, 0
	s_and_b64 s[30:31], s[4:5], s[0:1]
	v_lshlrev_b32_e32 v16, 2, v15
	v_add3_u32 v7, v7, v9, v10
	s_cmp_lg_u32 s48, 0
	v_add_u32_e32 v9, s3, v14
	v_or_b32_e32 v8, 0x1000, v16
	v_lshlrev_b32_e32 v17, 7, v14
	s_cselect_b64 s[34:35], -1, 0
	s_xor_b64 s[4:5], s[36:37], s[38:39]
	v_mul_lo_u32 v18, s23, v9
	s_mul_i32 s11, s23, s23
	v_cndmask_b32_e64 v9, 0, 1, s[6:7]
	s_mov_b32 s22, 0
	s_xor_b64 s[36:37], s[4:5], -1
	s_mul_i32 s11, s11, s10
	s_lshl_b32 s20, s23, 5
	v_cmp_ne_u32_e64 s[8:9], 1, v9
	v_mov_b32_e32 v9, 0
	v_add_u32_e32 v19, v8, v17
	v_add_u32_e32 v20, v16, v17
	;; [unrolled: 1-line block ×5, first 2 shown]
	s_branch .LBB0_14
.LBB0_13:                               ;   in Loop: Header=BB0_14 Depth=1
	s_or_b64 exec, exec, s[4:5]
	s_add_i32 s22, s22, 32
	s_cmp_lt_i32 s22, s23
	v_add_u32_e32 v18, 32, v18
	s_cbranch_scc0 .LBB0_48
.LBB0_14:                               ; =>This Loop Header: Depth=1
                                        ;     Child Loop BB0_17 Depth 2
                                        ;       Child Loop BB0_19 Depth 3
	v_add_u32_e32 v24, s22, v15
	s_and_b64 vcc, exec, s[8:9]
	v_cmp_gt_i32_e64 s[4:5], s23, v24
	v_mov_b32_e32 v27, v9
	s_cbranch_vccnz .LBB0_39
; %bb.15:                               ;   in Loop: Header=BB0_14 Depth=1
	v_mov_b32_e32 v27, 0
	s_mov_b32 s50, 0
	v_mov_b32_e32 v12, v18
	s_branch .LBB0_17
.LBB0_16:                               ;   in Loop: Header=BB0_17 Depth=2
	s_add_i32 s50, s50, 1
	s_cmp_eq_u32 s50, s49
	v_add_u32_e32 v12, s11, v12
	s_cbranch_scc1 .LBB0_39
.LBB0_17:                               ;   Parent Loop BB0_14 Depth=1
                                        ; =>  This Loop Header: Depth=2
                                        ;       Child Loop BB0_19 Depth 3
	s_mul_i32 s6, s50, s10
	s_add_i32 s6, s6, s2
	s_ashr_i32 s7, s6, 31
	s_lshl_b64 s[38:39], s[6:7], 2
	s_add_u32 s38, s12, s38
	s_addc_u32 s39, s13, s39
	s_load_dword s7, s[38:39], 0x0
	s_mul_i32 s6, s6, s23
	v_add_u32_e32 v8, s6, v24
	v_mul_lo_u32 v13, v8, s23
	v_add_u32_e32 v26, v15, v12
	s_waitcnt lgkmcnt(0)
	s_sub_i32 s6, s7, s21
	s_cmp_gt_i32 s6, -1
	s_cselect_b64 s[38:39], -1, 0
	s_mul_i32 s6, s6, s23
	v_cndmask_b32_e64 v8, 0, 1, s[38:39]
	v_add_u32_e32 v25, s6, v15
	v_cmp_ne_u32_e64 s[6:7], 1, v8
	s_mov_b32 s51, 0
	s_mov_b32 s52, 0
	s_branch .LBB0_19
.LBB0_18:                               ;   in Loop: Header=BB0_19 Depth=3
	s_add_i32 s52, s52, 32
	s_add_i32 s51, s51, s20
	s_cmp_ge_i32 s52, s23
	s_barrier
	s_cbranch_scc1 .LBB0_16
.LBB0_19:                               ;   Parent Loop BB0_14 Depth=1
                                        ;     Parent Loop BB0_17 Depth=2
                                        ; =>    This Inner Loop Header: Depth=3
	v_add_u32_e32 v8, s52, v15
	v_cmp_gt_i32_e32 vcc, s23, v8
	s_and_b64 s[40:41], s[0:1], vcc
	s_and_b64 s[40:41], s[40:41], s[38:39]
	s_mov_b64 s[42:43], -1
	s_and_b64 vcc, exec, s[36:37]
                                        ; implicit-def: $vgpr10
	s_cbranch_vccz .LBB0_23
; %bb.20:                               ;   in Loop: Header=BB0_19 Depth=3
	v_mov_b32_e32 v10, 0
	s_and_saveexec_b64 s[42:43], s[40:41]
	s_cbranch_execz .LBB0_22
; %bb.21:                               ;   in Loop: Header=BB0_19 Depth=3
	v_add_u32_e32 v28, s52, v25
	v_mad_u64_u32 v[10:11], s[44:45], s18, v28, 0
	v_mov_b32_e32 v8, v11
	v_mad_u64_u32 v[28:29], s[44:45], s19, v28, v[8:9]
	v_mov_b32_e32 v11, v28
	v_lshl_add_u64 v[10:11], v[10:11], 2, v[0:1]
	global_load_dword v10, v[10:11], off
.LBB0_22:                               ;   in Loop: Header=BB0_19 Depth=3
	s_or_b64 exec, exec, s[42:43]
	s_mov_b64 s[42:43], 0
.LBB0_23:                               ;   in Loop: Header=BB0_19 Depth=3
	s_andn2_b64 vcc, exec, s[42:43]
	s_cbranch_vccnz .LBB0_27
; %bb.24:                               ;   in Loop: Header=BB0_19 Depth=3
	s_waitcnt vmcnt(0)
	v_mov_b32_e32 v10, 0
	s_and_saveexec_b64 s[42:43], s[40:41]
	s_cbranch_execz .LBB0_26
; %bb.25:                               ;   in Loop: Header=BB0_19 Depth=3
	v_add_u32_e32 v8, s52, v25
	v_lshl_add_u64 v[10:11], v[8:9], 2, v[4:5]
	global_load_dword v10, v[10:11], off
.LBB0_26:                               ;   in Loop: Header=BB0_19 Depth=3
	s_or_b64 exec, exec, s[42:43]
.LBB0_27:                               ;   in Loop: Header=BB0_19 Depth=3
	v_add_u32_e32 v8, s52, v14
	v_cmp_gt_i32_e32 vcc, s23, v8
	s_and_b64 s[40:41], s[4:5], vcc
	s_and_b64 s[42:43], s[40:41], s[38:39]
	s_and_b64 vcc, exec, s[16:17]
	s_waitcnt vmcnt(0)
	ds_write_b32 v19, v10
	s_cbranch_vccz .LBB0_35
; %bb.28:                               ;   in Loop: Header=BB0_19 Depth=3
	s_mov_b64 s[44:45], 0
	s_mov_b64 s[40:41], 0
                                        ; implicit-def: $vgpr10
	s_and_saveexec_b64 s[46:47], s[42:43]
	s_xor_b64 s[46:47], exec, s[46:47]
; %bb.29:                               ;   in Loop: Header=BB0_19 Depth=3
	s_mov_b64 s[40:41], exec
	v_add_u32_e32 v10, s51, v26
; %bb.30:                               ;   in Loop: Header=BB0_19 Depth=3
	s_or_b64 exec, exec, s[46:47]
	s_and_b64 vcc, exec, s[44:45]
	s_cbranch_vccnz .LBB0_36
.LBB0_31:                               ;   in Loop: Header=BB0_19 Depth=3
	v_mov_b32_e32 v8, 0
	s_and_saveexec_b64 s[42:43], s[40:41]
	s_cbranch_execz .LBB0_33
.LBB0_32:                               ;   in Loop: Header=BB0_19 Depth=3
	v_ashrrev_i32_e32 v11, 31, v10
	v_lshl_add_u64 v[10:11], v[10:11], 2, s[14:15]
	global_load_dword v8, v[10:11], off
.LBB0_33:                               ;   in Loop: Header=BB0_19 Depth=3
	s_or_b64 exec, exec, s[42:43]
	s_and_b64 vcc, exec, s[6:7]
	s_waitcnt vmcnt(0)
	ds_write_b32 v20, v8
	s_waitcnt lgkmcnt(0)
	s_barrier
	s_cbranch_vccnz .LBB0_18
; %bb.34:                               ;   in Loop: Header=BB0_19 Depth=3
	ds_read2_b32 v[10:11], v16 offset1:32
	ds_read_b128 v[28:31], v17 offset:4096
	ds_read_b128 v[32:35], v17 offset:4112
	;; [unrolled: 1-line block ×4, first 2 shown]
	ds_read2_b32 v[44:45], v16 offset0:64 offset1:96
	s_waitcnt lgkmcnt(4)
	v_mul_lo_u32 v8, v28, v10
	v_mul_lo_u32 v10, v29, v11
	v_add3_u32 v8, v8, v27, v10
	ds_read2_b32 v[10:11], v16 offset0:128 offset1:160
	s_waitcnt lgkmcnt(1)
	v_mul_lo_u32 v27, v30, v44
	v_mul_lo_u32 v28, v31, v45
	v_add3_u32 v8, v8, v27, v28
	;; [unrolled: 5-line block ×3, first 2 shown]
	ds_read2_b32 v[10:11], v21 offset1:32
	s_waitcnt lgkmcnt(1)
	v_mul_lo_u32 v27, v34, v28
	v_mul_lo_u32 v28, v35, v29
	v_add3_u32 v8, v8, v27, v28
	ds_read2_b32 v[28:29], v21 offset0:64 offset1:96
	s_waitcnt lgkmcnt(1)
	v_mul_lo_u32 v10, v36, v10
	v_mul_lo_u32 v11, v37, v11
	v_add3_u32 v8, v8, v10, v11
	ds_read2_b32 v[10:11], v21 offset0:128 offset1:160
	s_waitcnt lgkmcnt(1)
	v_mul_lo_u32 v27, v38, v28
	v_mul_lo_u32 v28, v39, v29
	ds_read2_b32 v[32:33], v21 offset0:192 offset1:224
	v_add3_u32 v8, v8, v27, v28
	s_waitcnt lgkmcnt(1)
	v_mul_lo_u32 v10, v40, v10
	v_mul_lo_u32 v11, v41, v11
	v_add3_u32 v8, v8, v10, v11
	ds_read2_b32 v[10:11], v22 offset1:32
	ds_read_b128 v[28:31], v17 offset:4160
	s_waitcnt lgkmcnt(2)
	v_mul_lo_u32 v27, v42, v32
	v_mul_lo_u32 v32, v43, v33
	v_add3_u32 v8, v8, v27, v32
	ds_read2_b32 v[36:37], v22 offset0:64 offset1:96
	ds_read_b128 v[32:35], v17 offset:4176
	s_waitcnt lgkmcnt(2)
	v_mul_lo_u32 v10, v28, v10
	v_mul_lo_u32 v11, v29, v11
	v_add3_u32 v8, v8, v10, v11
	ds_read2_b32 v[10:11], v22 offset0:128 offset1:160
	s_waitcnt lgkmcnt(2)
	v_mul_lo_u32 v27, v30, v36
	v_mul_lo_u32 v28, v31, v37
	ds_read2_b32 v[36:37], v22 offset0:192 offset1:224
	v_add3_u32 v8, v8, v27, v28
	s_waitcnt lgkmcnt(1)
	v_mul_lo_u32 v11, v33, v11
	v_mul_lo_u32 v10, v32, v10
	v_add3_u32 v8, v8, v10, v11
	ds_read2_b32 v[10:11], v23 offset1:32
	ds_read_b128 v[28:31], v17 offset:4192
	s_waitcnt lgkmcnt(2)
	v_mul_lo_u32 v27, v35, v37
	v_mul_lo_u32 v32, v34, v36
	v_add3_u32 v8, v8, v32, v27
	ds_read2_b32 v[36:37], v23 offset0:64 offset1:96
	ds_read_b128 v[32:35], v17 offset:4208
	s_waitcnt lgkmcnt(2)
	v_mul_lo_u32 v11, v29, v11
	v_mul_lo_u32 v10, v28, v10
	v_add3_u32 v8, v8, v10, v11
	ds_read2_b32 v[10:11], v23 offset0:128 offset1:160
	ds_read2_b32 v[28:29], v23 offset0:192 offset1:224
	s_waitcnt lgkmcnt(3)
	v_mul_lo_u32 v27, v31, v37
	v_mul_lo_u32 v30, v30, v36
	v_add3_u32 v8, v8, v30, v27
	s_waitcnt lgkmcnt(1)
	v_mul_lo_u32 v11, v33, v11
	v_mul_lo_u32 v10, v32, v10
	v_add3_u32 v8, v8, v10, v11
	;; [unrolled: 4-line block ×3, first 2 shown]
	s_branch .LBB0_18
.LBB0_35:                               ;   in Loop: Header=BB0_19 Depth=3
	s_mov_b64 s[40:41], 0
                                        ; implicit-def: $vgpr10
	s_cbranch_execz .LBB0_31
.LBB0_36:                               ;   in Loop: Header=BB0_19 Depth=3
                                        ; implicit-def: $vgpr10
	s_and_saveexec_b64 s[44:45], s[42:43]
; %bb.37:                               ;   in Loop: Header=BB0_19 Depth=3
	v_add_u32_e32 v10, v8, v13
	s_or_b64 s[40:41], s[40:41], exec
; %bb.38:                               ;   in Loop: Header=BB0_19 Depth=3
	s_or_b64 exec, exec, s[44:45]
	v_mov_b32_e32 v8, 0
	s_and_saveexec_b64 s[42:43], s[40:41]
	s_cbranch_execnz .LBB0_32
	s_branch .LBB0_33
.LBB0_39:                               ;   in Loop: Header=BB0_14 Depth=1
	v_add_u32_e32 v12, s3, v24
	v_ashrrev_i32_e32 v13, 31, v12
	s_mov_b64 s[4:5], -1
	s_and_b64 vcc, exec, s[28:29]
                                        ; implicit-def: $vgpr10_vgpr11
	s_cbranch_vccnz .LBB0_42
; %bb.40:                               ;   in Loop: Header=BB0_14 Depth=1
	s_andn2_b64 vcc, exec, s[4:5]
	s_cbranch_vccz .LBB0_43
.LBB0_41:                               ;   in Loop: Header=BB0_14 Depth=1
	v_cmp_gt_i32_e32 vcc, s23, v24
	s_and_b64 s[6:7], s[30:31], vcc
	s_and_saveexec_b64 s[4:5], s[6:7]
	s_cbranch_execz .LBB0_13
	s_branch .LBB0_44
.LBB0_42:                               ;   in Loop: Header=BB0_14 Depth=1
	v_mad_u64_u32 v[10:11], s[4:5], s26, v12, v[2:3]
	v_mul_lo_u32 v8, s26, v13
	v_mul_lo_u32 v25, s27, v12
	v_add3_u32 v11, v25, v11, v8
	s_cbranch_execnz .LBB0_41
.LBB0_43:                               ;   in Loop: Header=BB0_14 Depth=1
	v_lshl_add_u64 v[10:11], v[6:7], 0, v[12:13]
	v_cmp_gt_i32_e32 vcc, s23, v24
	s_and_b64 s[6:7], s[30:31], vcc
	s_and_saveexec_b64 s[4:5], s[6:7]
	s_cbranch_execz .LBB0_13
.LBB0_44:                               ;   in Loop: Header=BB0_14 Depth=1
	s_and_b64 vcc, exec, s[34:35]
	v_mul_lo_u32 v8, v27, s33
	v_lshl_add_u64 v[10:11], v[10:11], 2, s[24:25]
	s_cbranch_vccz .LBB0_46
; %bb.45:                               ;   in Loop: Header=BB0_14 Depth=1
	global_load_dword v12, v[10:11], off
	s_waitcnt vmcnt(0)
	v_mad_u64_u32 v[12:13], s[6:7], v12, s48, v[8:9]
	global_store_dword v[10:11], v12, off
	s_cbranch_execnz .LBB0_13
	s_branch .LBB0_47
.LBB0_46:                               ;   in Loop: Header=BB0_14 Depth=1
.LBB0_47:                               ;   in Loop: Header=BB0_14 Depth=1
	global_store_dword v[10:11], v8, off
	s_branch .LBB0_13
.LBB0_48:
	s_endpgm
	.section	.rodata,"a",@progbits
	.p2align	6, 0x0
	.amdhsa_kernel _ZN9rocsparseL30bellmm_general_blockdim_kernelILi32ELi32EiiiiiEEv20rocsparse_operation_S1_20rocsparse_direction_T2_S3_NS_24const_host_device_scalarIT1_EES3_S3_PKS3_PKT3_PKT4_l16rocsparse_order_S6_PT5_lSF_21rocsparse_index_base_b
		.amdhsa_group_segment_fixed_size 8192
		.amdhsa_private_segment_fixed_size 0
		.amdhsa_kernarg_size 116
		.amdhsa_user_sgpr_count 2
		.amdhsa_user_sgpr_dispatch_ptr 0
		.amdhsa_user_sgpr_queue_ptr 0
		.amdhsa_user_sgpr_kernarg_segment_ptr 1
		.amdhsa_user_sgpr_dispatch_id 0
		.amdhsa_user_sgpr_kernarg_preload_length 0
		.amdhsa_user_sgpr_kernarg_preload_offset 0
		.amdhsa_user_sgpr_private_segment_size 0
		.amdhsa_uses_dynamic_stack 0
		.amdhsa_enable_private_segment 0
		.amdhsa_system_sgpr_workgroup_id_x 1
		.amdhsa_system_sgpr_workgroup_id_y 1
		.amdhsa_system_sgpr_workgroup_id_z 0
		.amdhsa_system_sgpr_workgroup_info 0
		.amdhsa_system_vgpr_workitem_id 1
		.amdhsa_next_free_vgpr 46
		.amdhsa_next_free_sgpr 53
		.amdhsa_accum_offset 48
		.amdhsa_reserve_vcc 1
		.amdhsa_float_round_mode_32 0
		.amdhsa_float_round_mode_16_64 0
		.amdhsa_float_denorm_mode_32 3
		.amdhsa_float_denorm_mode_16_64 3
		.amdhsa_dx10_clamp 1
		.amdhsa_ieee_mode 1
		.amdhsa_fp16_overflow 0
		.amdhsa_tg_split 0
		.amdhsa_exception_fp_ieee_invalid_op 0
		.amdhsa_exception_fp_denorm_src 0
		.amdhsa_exception_fp_ieee_div_zero 0
		.amdhsa_exception_fp_ieee_overflow 0
		.amdhsa_exception_fp_ieee_underflow 0
		.amdhsa_exception_fp_ieee_inexact 0
		.amdhsa_exception_int_div_zero 0
	.end_amdhsa_kernel
	.section	.text._ZN9rocsparseL30bellmm_general_blockdim_kernelILi32ELi32EiiiiiEEv20rocsparse_operation_S1_20rocsparse_direction_T2_S3_NS_24const_host_device_scalarIT1_EES3_S3_PKS3_PKT3_PKT4_l16rocsparse_order_S6_PT5_lSF_21rocsparse_index_base_b,"axG",@progbits,_ZN9rocsparseL30bellmm_general_blockdim_kernelILi32ELi32EiiiiiEEv20rocsparse_operation_S1_20rocsparse_direction_T2_S3_NS_24const_host_device_scalarIT1_EES3_S3_PKS3_PKT3_PKT4_l16rocsparse_order_S6_PT5_lSF_21rocsparse_index_base_b,comdat
.Lfunc_end0:
	.size	_ZN9rocsparseL30bellmm_general_blockdim_kernelILi32ELi32EiiiiiEEv20rocsparse_operation_S1_20rocsparse_direction_T2_S3_NS_24const_host_device_scalarIT1_EES3_S3_PKS3_PKT3_PKT4_l16rocsparse_order_S6_PT5_lSF_21rocsparse_index_base_b, .Lfunc_end0-_ZN9rocsparseL30bellmm_general_blockdim_kernelILi32ELi32EiiiiiEEv20rocsparse_operation_S1_20rocsparse_direction_T2_S3_NS_24const_host_device_scalarIT1_EES3_S3_PKS3_PKT3_PKT4_l16rocsparse_order_S6_PT5_lSF_21rocsparse_index_base_b
                                        ; -- End function
	.set _ZN9rocsparseL30bellmm_general_blockdim_kernelILi32ELi32EiiiiiEEv20rocsparse_operation_S1_20rocsparse_direction_T2_S3_NS_24const_host_device_scalarIT1_EES3_S3_PKS3_PKT3_PKT4_l16rocsparse_order_S6_PT5_lSF_21rocsparse_index_base_b.num_vgpr, 46
	.set _ZN9rocsparseL30bellmm_general_blockdim_kernelILi32ELi32EiiiiiEEv20rocsparse_operation_S1_20rocsparse_direction_T2_S3_NS_24const_host_device_scalarIT1_EES3_S3_PKS3_PKT3_PKT4_l16rocsparse_order_S6_PT5_lSF_21rocsparse_index_base_b.num_agpr, 0
	.set _ZN9rocsparseL30bellmm_general_blockdim_kernelILi32ELi32EiiiiiEEv20rocsparse_operation_S1_20rocsparse_direction_T2_S3_NS_24const_host_device_scalarIT1_EES3_S3_PKS3_PKT3_PKT4_l16rocsparse_order_S6_PT5_lSF_21rocsparse_index_base_b.numbered_sgpr, 53
	.set _ZN9rocsparseL30bellmm_general_blockdim_kernelILi32ELi32EiiiiiEEv20rocsparse_operation_S1_20rocsparse_direction_T2_S3_NS_24const_host_device_scalarIT1_EES3_S3_PKS3_PKT3_PKT4_l16rocsparse_order_S6_PT5_lSF_21rocsparse_index_base_b.num_named_barrier, 0
	.set _ZN9rocsparseL30bellmm_general_blockdim_kernelILi32ELi32EiiiiiEEv20rocsparse_operation_S1_20rocsparse_direction_T2_S3_NS_24const_host_device_scalarIT1_EES3_S3_PKS3_PKT3_PKT4_l16rocsparse_order_S6_PT5_lSF_21rocsparse_index_base_b.private_seg_size, 0
	.set _ZN9rocsparseL30bellmm_general_blockdim_kernelILi32ELi32EiiiiiEEv20rocsparse_operation_S1_20rocsparse_direction_T2_S3_NS_24const_host_device_scalarIT1_EES3_S3_PKS3_PKT3_PKT4_l16rocsparse_order_S6_PT5_lSF_21rocsparse_index_base_b.uses_vcc, 1
	.set _ZN9rocsparseL30bellmm_general_blockdim_kernelILi32ELi32EiiiiiEEv20rocsparse_operation_S1_20rocsparse_direction_T2_S3_NS_24const_host_device_scalarIT1_EES3_S3_PKS3_PKT3_PKT4_l16rocsparse_order_S6_PT5_lSF_21rocsparse_index_base_b.uses_flat_scratch, 0
	.set _ZN9rocsparseL30bellmm_general_blockdim_kernelILi32ELi32EiiiiiEEv20rocsparse_operation_S1_20rocsparse_direction_T2_S3_NS_24const_host_device_scalarIT1_EES3_S3_PKS3_PKT3_PKT4_l16rocsparse_order_S6_PT5_lSF_21rocsparse_index_base_b.has_dyn_sized_stack, 0
	.set _ZN9rocsparseL30bellmm_general_blockdim_kernelILi32ELi32EiiiiiEEv20rocsparse_operation_S1_20rocsparse_direction_T2_S3_NS_24const_host_device_scalarIT1_EES3_S3_PKS3_PKT3_PKT4_l16rocsparse_order_S6_PT5_lSF_21rocsparse_index_base_b.has_recursion, 0
	.set _ZN9rocsparseL30bellmm_general_blockdim_kernelILi32ELi32EiiiiiEEv20rocsparse_operation_S1_20rocsparse_direction_T2_S3_NS_24const_host_device_scalarIT1_EES3_S3_PKS3_PKT3_PKT4_l16rocsparse_order_S6_PT5_lSF_21rocsparse_index_base_b.has_indirect_call, 0
	.section	.AMDGPU.csdata,"",@progbits
; Kernel info:
; codeLenInByte = 1976
; TotalNumSgprs: 59
; NumVgprs: 46
; NumAgprs: 0
; TotalNumVgprs: 46
; ScratchSize: 0
; MemoryBound: 0
; FloatMode: 240
; IeeeMode: 1
; LDSByteSize: 8192 bytes/workgroup (compile time only)
; SGPRBlocks: 7
; VGPRBlocks: 5
; NumSGPRsForWavesPerEU: 59
; NumVGPRsForWavesPerEU: 46
; AccumOffset: 48
; Occupancy: 8
; WaveLimiterHint : 1
; COMPUTE_PGM_RSRC2:SCRATCH_EN: 0
; COMPUTE_PGM_RSRC2:USER_SGPR: 2
; COMPUTE_PGM_RSRC2:TRAP_HANDLER: 0
; COMPUTE_PGM_RSRC2:TGID_X_EN: 1
; COMPUTE_PGM_RSRC2:TGID_Y_EN: 1
; COMPUTE_PGM_RSRC2:TGID_Z_EN: 0
; COMPUTE_PGM_RSRC2:TIDIG_COMP_CNT: 1
; COMPUTE_PGM_RSRC3_GFX90A:ACCUM_OFFSET: 11
; COMPUTE_PGM_RSRC3_GFX90A:TG_SPLIT: 0
	.section	.text._ZN9rocsparseL30bellmm_general_blockdim_kernelILi32ELi32EiliiiEEv20rocsparse_operation_S1_20rocsparse_direction_T2_S3_NS_24const_host_device_scalarIT1_EES3_S3_PKS3_PKT3_PKT4_l16rocsparse_order_S6_PT5_lSF_21rocsparse_index_base_b,"axG",@progbits,_ZN9rocsparseL30bellmm_general_blockdim_kernelILi32ELi32EiliiiEEv20rocsparse_operation_S1_20rocsparse_direction_T2_S3_NS_24const_host_device_scalarIT1_EES3_S3_PKS3_PKT3_PKT4_l16rocsparse_order_S6_PT5_lSF_21rocsparse_index_base_b,comdat
	.globl	_ZN9rocsparseL30bellmm_general_blockdim_kernelILi32ELi32EiliiiEEv20rocsparse_operation_S1_20rocsparse_direction_T2_S3_NS_24const_host_device_scalarIT1_EES3_S3_PKS3_PKT3_PKT4_l16rocsparse_order_S6_PT5_lSF_21rocsparse_index_base_b ; -- Begin function _ZN9rocsparseL30bellmm_general_blockdim_kernelILi32ELi32EiliiiEEv20rocsparse_operation_S1_20rocsparse_direction_T2_S3_NS_24const_host_device_scalarIT1_EES3_S3_PKS3_PKT3_PKT4_l16rocsparse_order_S6_PT5_lSF_21rocsparse_index_base_b
	.p2align	8
	.type	_ZN9rocsparseL30bellmm_general_blockdim_kernelILi32ELi32EiliiiEEv20rocsparse_operation_S1_20rocsparse_direction_T2_S3_NS_24const_host_device_scalarIT1_EES3_S3_PKS3_PKT3_PKT4_l16rocsparse_order_S6_PT5_lSF_21rocsparse_index_base_b,@function
_ZN9rocsparseL30bellmm_general_blockdim_kernelILi32ELi32EiliiiEEv20rocsparse_operation_S1_20rocsparse_direction_T2_S3_NS_24const_host_device_scalarIT1_EES3_S3_PKS3_PKT3_PKT4_l16rocsparse_order_S6_PT5_lSF_21rocsparse_index_base_b: ; @_ZN9rocsparseL30bellmm_general_blockdim_kernelILi32ELi32EiliiiEEv20rocsparse_operation_S1_20rocsparse_direction_T2_S3_NS_24const_host_device_scalarIT1_EES3_S3_PKS3_PKT3_PKT4_l16rocsparse_order_S6_PT5_lSF_21rocsparse_index_base_b
; %bb.0:
	s_load_dwordx4 s[24:27], s[0:1], 0x78
	s_load_dwordx8 s[8:15], s[0:1], 0x10
	s_mov_b32 s6, s3
	s_mov_b64 s[18:19], -1
                                        ; implicit-def: $sgpr33
	s_waitcnt lgkmcnt(0)
	s_bitcmp1_b32 s26, 0
	s_cselect_b64 s[4:5], -1, 0
	s_xor_b64 s[16:17], s[4:5], -1
	s_and_b64 vcc, exec, s[16:17]
	s_cbranch_vccnz .LBB1_4
; %bb.1:
	s_load_dwordx2 s[4:5], s[0:1], 0x60
	s_andn2_b64 vcc, exec, s[18:19]
	s_cbranch_vccz .LBB1_5
.LBB1_2:
	s_and_b64 vcc, exec, s[16:17]
	s_cbranch_vccz .LBB1_6
.LBB1_3:
	s_waitcnt lgkmcnt(0)
	s_load_dword s58, s[4:5], 0x0
	s_cbranch_execz .LBB1_7
	s_branch .LBB1_8
.LBB1_4:
	s_load_dword s33, s[12:13], 0x0
	s_load_dwordx2 s[4:5], s[0:1], 0x60
	s_cbranch_execnz .LBB1_2
.LBB1_5:
	s_waitcnt lgkmcnt(0)
	s_mov_b32 s33, s12
	s_and_b64 vcc, exec, s[16:17]
	s_cbranch_vccnz .LBB1_3
.LBB1_6:
                                        ; implicit-def: $sgpr58
.LBB1_7:
	s_waitcnt lgkmcnt(0)
	s_mov_b32 s58, s4
.LBB1_8:
	s_waitcnt lgkmcnt(0)
	s_cmp_eq_u32 s33, 0
	s_cselect_b64 s[4:5], -1, 0
	s_cmp_eq_u32 s58, 1
	s_cselect_b64 s[12:13], -1, 0
	s_and_b64 s[4:5], s[4:5], s[12:13]
	s_mov_b32 s3, 0
	s_and_b64 vcc, exec, s[4:5]
	s_cbranch_vccnz .LBB1_48
; %bb.9:
	s_load_dwordx2 s[26:27], s[0:1], 0x30
	v_mov_b64_e32 v[2:3], s[2:3]
	v_cmp_le_i64_e32 vcc, s[8:9], v[2:3]
	v_cmp_gt_i64_e64 s[4:5], s[8:9], v[2:3]
	s_mov_b64 s[28:29], 0
	s_cbranch_vccnz .LBB1_13
; %bb.10:
	s_waitcnt lgkmcnt(0)
	s_or_b64 s[12:13], s[14:15], s[26:27]
	s_mov_b32 s12, 0
	s_cmp_lg_u64 s[12:13], 0
	s_cbranch_scc0 .LBB1_49
; %bb.11:
	s_ashr_i32 s12, s27, 31
	s_add_u32 s16, s26, s12
	s_mov_b32 s13, s12
	s_addc_u32 s17, s27, s12
	s_xor_b64 s[18:19], s[16:17], s[12:13]
	v_cvt_f32_u32_e32 v1, s18
	v_cvt_f32_u32_e32 v2, s19
	s_sub_u32 s3, 0, s18
	s_subb_u32 s7, 0, s19
	v_fmamk_f32 v1, v2, 0x4f800000, v1
	v_rcp_f32_e32 v1, v1
	s_nop 0
	v_mul_f32_e32 v1, 0x5f7ffffc, v1
	v_mul_f32_e32 v2, 0x2f800000, v1
	v_trunc_f32_e32 v2, v2
	v_fmamk_f32 v1, v2, 0xcf800000, v1
	v_cvt_u32_f32_e32 v2, v2
	v_cvt_u32_f32_e32 v1, v1
	v_readfirstlane_b32 s22, v2
	v_readfirstlane_b32 s20, v1
	s_mul_i32 s21, s3, s22
	s_mul_hi_u32 s28, s3, s20
	s_mul_i32 s23, s7, s20
	s_add_i32 s21, s28, s21
	s_add_i32 s21, s21, s23
	s_mul_i32 s29, s3, s20
	s_mul_i32 s28, s20, s21
	s_mul_hi_u32 s30, s20, s29
	s_mul_hi_u32 s23, s20, s21
	s_add_u32 s28, s30, s28
	s_addc_u32 s23, 0, s23
	s_mul_hi_u32 s31, s22, s29
	s_mul_i32 s29, s22, s29
	s_add_u32 s28, s28, s29
	s_mul_hi_u32 s30, s22, s21
	s_addc_u32 s23, s23, s31
	s_addc_u32 s28, s30, 0
	s_mul_i32 s21, s22, s21
	s_add_u32 s21, s23, s21
	s_addc_u32 s23, 0, s28
	s_add_u32 s28, s20, s21
	s_cselect_b64 s[20:21], -1, 0
	s_cmp_lg_u64 s[20:21], 0
	s_addc_u32 s22, s22, s23
	s_mul_i32 s20, s3, s22
	s_mul_hi_u32 s21, s3, s28
	s_add_i32 s20, s21, s20
	s_mul_i32 s7, s7, s28
	s_add_i32 s20, s20, s7
	s_mul_i32 s3, s3, s28
	s_mul_hi_u32 s21, s22, s3
	s_mul_i32 s23, s22, s3
	s_mul_i32 s30, s28, s20
	s_mul_hi_u32 s3, s28, s3
	s_mul_hi_u32 s29, s28, s20
	s_add_u32 s3, s3, s30
	s_addc_u32 s29, 0, s29
	s_add_u32 s3, s3, s23
	s_mul_hi_u32 s7, s22, s20
	s_addc_u32 s3, s29, s21
	s_addc_u32 s7, s7, 0
	s_mul_i32 s20, s22, s20
	s_add_u32 s3, s3, s20
	s_addc_u32 s7, 0, s7
	s_add_u32 s3, s28, s3
	s_cselect_b64 s[20:21], -1, 0
	s_cmp_lg_u64 s[20:21], 0
	s_addc_u32 s7, s22, s7
	s_ashr_i32 s20, s15, 31
	s_add_u32 s22, s14, s20
	s_mov_b32 s21, s20
	s_addc_u32 s23, s15, s20
	s_xor_b64 s[22:23], s[22:23], s[20:21]
	s_mul_i32 s28, s22, s7
	s_mul_hi_u32 s29, s22, s3
	s_mul_hi_u32 s15, s22, s7
	s_add_u32 s28, s29, s28
	s_addc_u32 s15, 0, s15
	s_mul_hi_u32 s30, s23, s3
	s_mul_i32 s3, s23, s3
	s_add_u32 s3, s28, s3
	s_mul_hi_u32 s29, s23, s7
	s_addc_u32 s3, s15, s30
	s_addc_u32 s15, s29, 0
	s_mul_i32 s7, s23, s7
	s_add_u32 s3, s3, s7
	s_addc_u32 s7, 0, s15
	s_mul_i32 s15, s18, s7
	s_mul_hi_u32 s28, s18, s3
	s_add_i32 s15, s28, s15
	s_mul_i32 s28, s19, s3
	s_add_i32 s15, s15, s28
	s_sub_i32 s30, s23, s15
	s_mul_i32 s28, s18, s3
	s_sub_u32 s22, s22, s28
	s_cselect_b64 s[28:29], -1, 0
	s_cmp_lg_u64 s[28:29], 0
	s_subb_u32 s34, s30, s19
	s_sub_u32 s35, s22, s18
	s_cselect_b64 s[30:31], -1, 0
	s_cmp_lg_u64 s[30:31], 0
	s_subb_u32 s30, s34, 0
	s_cmp_ge_u32 s30, s19
	s_cselect_b32 s31, -1, 0
	s_cmp_ge_u32 s35, s18
	s_cselect_b32 s34, -1, 0
	s_cmp_eq_u32 s30, s19
	s_cselect_b32 s30, s34, s31
	s_add_u32 s31, s3, 1
	s_addc_u32 s34, s7, 0
	s_add_u32 s35, s3, 2
	s_addc_u32 s36, s7, 0
	s_cmp_lg_u32 s30, 0
	s_cselect_b32 s30, s35, s31
	s_cselect_b32 s31, s36, s34
	s_cmp_lg_u64 s[28:29], 0
	s_subb_u32 s15, s23, s15
	s_cmp_ge_u32 s15, s19
	s_cselect_b32 s23, -1, 0
	s_cmp_ge_u32 s22, s18
	s_cselect_b32 s18, -1, 0
	s_cmp_eq_u32 s15, s19
	s_cselect_b32 s15, s18, s23
	s_cmp_lg_u32 s15, 0
	s_cselect_b32 s19, s31, s7
	s_cselect_b32 s18, s30, s3
	s_xor_b64 s[12:13], s[20:21], s[12:13]
	s_xor_b64 s[18:19], s[18:19], s[12:13]
	s_sub_u32 s28, s18, s12
	s_subb_u32 s29, s19, s13
	s_cbranch_execnz .LBB1_13
.LBB1_12:
	v_cvt_f32_u32_e32 v1, s26
	s_sub_i32 s3, 0, s26
	s_mov_b32 s29, 0
	v_rcp_iflag_f32_e32 v1, v1
	s_nop 0
	v_mul_f32_e32 v1, 0x4f7ffffe, v1
	v_cvt_u32_f32_e32 v1, v1
	s_nop 0
	v_readfirstlane_b32 s7, v1
	s_mul_i32 s3, s3, s7
	s_mul_hi_u32 s3, s7, s3
	s_add_i32 s7, s7, s3
	s_mul_hi_u32 s3, s14, s7
	s_mul_i32 s12, s3, s26
	s_sub_i32 s12, s14, s12
	s_add_i32 s7, s3, 1
	s_sub_i32 s13, s12, s26
	s_cmp_ge_u32 s12, s26
	s_cselect_b32 s3, s7, s3
	s_cselect_b32 s12, s13, s12
	s_add_i32 s7, s3, 1
	s_cmp_ge_u32 s12, s26
	s_cselect_b32 s28, s7, s3
.LBB1_13:
	s_waitcnt lgkmcnt(0)
	v_cmp_lt_i64_e64 s[12:13], s[26:27], 1
	s_and_b64 vcc, exec, s[12:13]
	s_cbranch_vccnz .LBB1_48
; %bb.14:
	s_mov_b32 s7, 0
	v_bfe_u32 v2, v0, 10, 10
	v_mov_b32_e32 v3, 0
	s_lshl_b32 s6, s6, 5
	v_lshl_add_u64 v[4:5], s[6:7], 0, v[2:3]
	s_load_dwordx2 s[6:7], s[0:1], 0x4
	s_load_dwordx4 s[20:23], s[0:1], 0x68
	s_load_dword s36, s[0:1], 0x58
	s_load_dwordx8 s[12:19], s[0:1], 0x38
	s_mul_i32 s0, s27, s2
	s_mul_hi_u32 s1, s26, s2
	s_add_i32 s31, s1, s0
	s_waitcnt lgkmcnt(0)
	s_cmpk_eq_i32 s6, 0x6f
	s_cselect_b64 s[40:41], -1, 0
	s_cmp_lg_u32 s36, 1
	s_cselect_b64 s[42:43], -1, 0
	s_cmp_lg_u32 s7, 0
	v_cmp_gt_i64_e64 s[0:1], s[10:11], v[4:5]
	s_cselect_b64 s[10:11], -1, 0
	s_cmp_lg_u32 s24, 1
	s_mov_b32 s3, s25
	s_cselect_b64 s[24:25], -1, 0
	s_and_b64 s[36:37], s[4:5], s[0:1]
	s_cmp_lg_u32 s58, 0
	v_mul_lo_u32 v7, s23, v4
	v_mul_lo_u32 v10, s22, v5
	v_mad_u64_u32 v[8:9], s[6:7], s22, v4, 0
	s_cselect_b64 s[38:39], -1, 0
	s_xor_b64 s[4:5], s[40:41], s[42:43]
	v_and_b32_e32 v0, 0x3ff, v0
	s_mul_i32 s30, s26, s2
	v_add3_u32 v9, v9, v10, v7
	s_xor_b64 s[40:41], s[4:5], -1
	v_mul_lo_u32 v7, s19, v4
	v_mul_lo_u32 v12, s18, v5
	v_mad_u64_u32 v[10:11], s[4:5], s18, v4, 0
	v_lshlrev_b32_e32 v6, 2, v0
	v_add3_u32 v11, v11, v12, v7
	v_mov_b32_e32 v7, v3
	s_lshl_b64 s[4:5], s[30:31], 2
	v_lshl_add_u64 v[12:13], s[4:5], 0, v[6:7]
	v_lshlrev_b32_e32 v16, 2, v2
	v_mov_b32_e32 v17, v3
	v_mul_lo_u32 v14, s26, v13
	v_mul_lo_u32 v15, s27, v12
	v_mad_u64_u32 v[12:13], s[6:7], s26, v12, v[16:17]
	s_mul_i32 s6, s26, s27
	s_mul_hi_u32 s7, s26, s26
	s_add_i32 s7, s7, s6
	s_mul_i32 s46, s26, s26
	v_lshl_add_u64 v[16:17], s[4:5], 0, v[16:17]
	s_add_i32 s6, s7, s6
	s_mul_i32 s7, s46, s9
	s_mul_hi_u32 s47, s46, s8
	v_mul_lo_u32 v19, s26, v17
	v_mul_lo_u32 v20, s27, v16
	v_mad_u64_u32 v[16:17], s[4:5], s26, v16, v[6:7]
	s_add_i32 s7, s47, s7
	s_mul_i32 s6, s6, s8
	v_cmp_gt_i64_e64 s[4:5], s[28:29], 0
	v_or_b32_e32 v18, 0x1000, v6
	v_lshlrev_b32_e32 v32, 7, v2
	v_lshl_add_u64 v[10:11], v[10:11], 2, v[6:7]
	v_add3_u32 v13, v15, v13, v14
	s_add_i32 s7, s7, s6
	s_mul_i32 s6, s46, s8
	v_add3_u32 v17, v20, v17, v19
	v_cndmask_b32_e64 v19, 0, 1, s[4:5]
	v_mov_b32_e32 v1, v3
	s_mov_b64 s[34:35], 0
	v_lshl_add_u64 v[10:11], s[16:17], 0, v[10:11]
	s_lshl_b64 s[42:43], s[26:27], 2
	v_lshl_add_u64 v[12:13], s[14:15], 0, v[12:13]
	s_lshl_b64 s[44:45], s[26:27], 7
	s_lshl_b64 s[46:47], s[6:7], 2
	v_lshl_add_u64 v[14:15], v[4:5], 2, s[16:17]
	s_lshl_b64 s[16:17], s[18:19], 2
	s_lshl_b64 s[18:19], s[18:19], 7
	v_lshl_add_u64 v[16:17], s[14:15], 0, v[16:17]
	v_add_u32_e32 v7, v18, v32
	v_add_u32_e32 v33, v6, v32
	s_mov_b64 s[14:15], 0x80
	v_cmp_ne_u32_e64 s[4:5], 1, v19
	v_add_u32_e32 v34, 0x400, v6
	v_add_u32_e32 v35, 0x800, v6
	;; [unrolled: 1-line block ×3, first 2 shown]
	s_branch .LBB1_16
.LBB1_15:                               ;   in Loop: Header=BB1_16 Depth=1
	s_or_b64 exec, exec, s[6:7]
	s_add_u32 s34, s34, 32
	s_addc_u32 s35, s35, 0
	v_mov_b64_e32 v[18:19], s[26:27]
	v_cmp_lt_i64_e32 vcc, s[34:35], v[18:19]
	v_lshl_add_u64 v[12:13], v[12:13], 0, s[44:45]
	v_lshl_add_u64 v[16:17], v[16:17], 0, s[14:15]
	s_cbranch_vccz .LBB1_48
.LBB1_16:                               ; =>This Loop Header: Depth=1
                                        ;     Child Loop BB1_19 Depth 2
                                        ;       Child Loop BB1_21 Depth 3
	v_lshl_add_u64 v[18:19], s[34:35], 0, v[0:1]
	s_and_b64 vcc, exec, s[4:5]
	v_cmp_gt_i64_e64 s[6:7], s[26:27], v[18:19]
	v_mov_b32_e32 v37, 0
	s_cbranch_vccnz .LBB1_39
; %bb.17:                               ;   in Loop: Header=BB1_16 Depth=1
	s_mov_b64 s[48:49], 0
	v_mov_b32_e32 v37, 0
	v_mov_b64_e32 v[20:21], v[16:17]
	v_mov_b64_e32 v[22:23], v[12:13]
	s_branch .LBB1_19
.LBB1_18:                               ;   in Loop: Header=BB1_19 Depth=2
	s_add_u32 s48, s48, 1
	s_addc_u32 s49, s49, 0
	v_lshl_add_u64 v[22:23], v[22:23], 0, s[46:47]
	s_cmp_eq_u64 s[48:49], s[28:29]
	v_lshl_add_u64 v[20:21], v[20:21], 0, s[46:47]
	s_cbranch_scc1 .LBB1_39
.LBB1_19:                               ;   Parent Loop BB1_16 Depth=1
                                        ; =>  This Loop Header: Depth=2
                                        ;       Child Loop BB1_21 Depth 3
	s_mul_i32 s50, s48, s9
	s_mul_hi_u32 s51, s48, s8
	s_add_i32 s50, s51, s50
	s_mul_i32 s51, s49, s8
	s_add_i32 s51, s50, s51
	s_mul_i32 s50, s48, s8
	s_add_u32 s50, s50, s2
	s_addc_u32 s51, s51, 0
	s_lshl_b64 s[50:51], s[50:51], 3
	s_add_u32 s50, s12, s50
	s_addc_u32 s51, s13, s51
	s_load_dwordx2 s[50:51], s[50:51], 0x0
	v_mov_b32_e32 v26, s26
	v_mov_b64_e32 v[30:31], v[22:23]
	s_waitcnt lgkmcnt(0)
	s_sub_u32 s50, s50, s3
	s_subb_u32 s51, s51, 0
	s_mul_i32 s52, s43, s50
	s_mul_i32 s53, s42, s51
	v_mov_b32_e32 v24, s50
	s_add_i32 s54, s53, s52
	v_mad_u64_u32 v[24:25], s[52:53], s42, v24, v[10:11]
	s_mul_i32 s52, s51, s26
	s_mul_i32 s53, s50, s27
	v_add_u32_e32 v25, s54, v25
	s_add_i32 s54, s53, s52
	v_mad_u64_u32 v[26:27], s[52:53], s50, v26, v[0:1]
	v_add_u32_e32 v27, s54, v27
	v_mul_lo_u32 v28, s16, v27
	v_mul_lo_u32 v29, s17, v26
	v_mad_u64_u32 v[26:27], s[52:53], s16, v26, v[14:15]
	v_add3_u32 v27, v29, v27, v28
	v_cmp_gt_i64_e64 s[50:51], s[50:51], -1
	v_mov_b64_e32 v[28:29], v[20:21]
	s_mov_b64 s[52:53], 0
	s_branch .LBB1_21
.LBB1_20:                               ;   in Loop: Header=BB1_21 Depth=3
	s_add_u32 s52, s52, 32
	s_addc_u32 s53, s53, 0
	v_mov_b64_e32 v[38:39], s[26:27]
	v_cmp_ge_i64_e32 vcc, s[52:53], v[38:39]
	v_lshl_add_u64 v[24:25], v[24:25], 0, s[14:15]
	v_lshl_add_u64 v[30:31], v[30:31], 0, s[14:15]
	;; [unrolled: 1-line block ×4, first 2 shown]
	s_barrier
	s_cbranch_vccnz .LBB1_18
.LBB1_21:                               ;   Parent Loop BB1_16 Depth=1
                                        ;     Parent Loop BB1_19 Depth=2
                                        ; =>    This Inner Loop Header: Depth=3
	v_lshl_add_u64 v[38:39], v[0:1], 0, s[52:53]
	v_cmp_gt_i64_e32 vcc, s[26:27], v[38:39]
	s_and_b64 s[54:55], s[0:1], vcc
	s_and_b64 s[54:55], s[54:55], s[50:51]
	s_mov_b64 s[56:57], -1
	s_and_b64 vcc, exec, s[40:41]
                                        ; implicit-def: $vgpr38
	s_cbranch_vccz .LBB1_25
; %bb.22:                               ;   in Loop: Header=BB1_21 Depth=3
	v_mov_b32_e32 v38, 0
	s_and_saveexec_b64 s[56:57], s[54:55]
	s_cbranch_execz .LBB1_24
; %bb.23:                               ;   in Loop: Header=BB1_21 Depth=3
	global_load_dword v38, v[26:27], off
.LBB1_24:                               ;   in Loop: Header=BB1_21 Depth=3
	s_or_b64 exec, exec, s[56:57]
	s_mov_b64 s[56:57], 0
.LBB1_25:                               ;   in Loop: Header=BB1_21 Depth=3
	s_andn2_b64 vcc, exec, s[56:57]
	s_cbranch_vccnz .LBB1_29
; %bb.26:                               ;   in Loop: Header=BB1_21 Depth=3
	s_waitcnt vmcnt(0)
	v_mov_b32_e32 v38, 0
	s_and_saveexec_b64 s[56:57], s[54:55]
	s_cbranch_execz .LBB1_28
; %bb.27:                               ;   in Loop: Header=BB1_21 Depth=3
	global_load_dword v38, v[24:25], off
.LBB1_28:                               ;   in Loop: Header=BB1_21 Depth=3
	s_or_b64 exec, exec, s[56:57]
.LBB1_29:                               ;   in Loop: Header=BB1_21 Depth=3
	v_lshl_add_u64 v[40:41], v[2:3], 0, s[52:53]
	v_cmp_gt_i64_e32 vcc, s[26:27], v[40:41]
	s_and_b64 s[54:55], s[6:7], vcc
	s_and_b64 s[54:55], s[54:55], s[50:51]
	s_and_b64 vcc, exec, s[10:11]
	s_waitcnt vmcnt(0)
	ds_write_b32 v7, v38
	s_cbranch_vccz .LBB1_33
; %bb.30:                               ;   in Loop: Header=BB1_21 Depth=3
	v_mov_b32_e32 v38, 0
	s_and_saveexec_b64 s[56:57], s[54:55]
	s_cbranch_execz .LBB1_32
; %bb.31:                               ;   in Loop: Header=BB1_21 Depth=3
	global_load_dword v38, v[28:29], off
.LBB1_32:                               ;   in Loop: Header=BB1_21 Depth=3
	s_or_b64 exec, exec, s[56:57]
	s_cbranch_execz .LBB1_34
	s_branch .LBB1_37
.LBB1_33:                               ;   in Loop: Header=BB1_21 Depth=3
                                        ; implicit-def: $vgpr38
.LBB1_34:                               ;   in Loop: Header=BB1_21 Depth=3
	s_waitcnt vmcnt(0)
	v_mov_b32_e32 v38, 0
	s_and_saveexec_b64 s[56:57], s[54:55]
	s_cbranch_execz .LBB1_36
; %bb.35:                               ;   in Loop: Header=BB1_21 Depth=3
	global_load_dword v38, v[30:31], off
.LBB1_36:                               ;   in Loop: Header=BB1_21 Depth=3
	s_or_b64 exec, exec, s[56:57]
.LBB1_37:                               ;   in Loop: Header=BB1_21 Depth=3
	s_andn2_b64 vcc, exec, s[50:51]
	s_waitcnt vmcnt(0)
	ds_write_b32 v33, v38
	s_waitcnt lgkmcnt(0)
	s_barrier
	s_cbranch_vccnz .LBB1_20
; %bb.38:                               ;   in Loop: Header=BB1_21 Depth=3
	ds_read2_b32 v[54:55], v6 offset1:32
	ds_read_b128 v[38:41], v32 offset:4096
	ds_read_b128 v[42:45], v32 offset:4112
	;; [unrolled: 1-line block ×4, first 2 shown]
	ds_read2_b32 v[56:57], v6 offset0:64 offset1:96
	s_waitcnt lgkmcnt(4)
	v_mul_lo_u32 v38, v38, v54
	v_mul_lo_u32 v39, v39, v55
	v_add3_u32 v37, v38, v37, v39
	ds_read2_b32 v[38:39], v6 offset0:128 offset1:160
	s_waitcnt lgkmcnt(1)
	v_mul_lo_u32 v40, v40, v56
	v_mul_lo_u32 v41, v41, v57
	v_add3_u32 v37, v37, v40, v41
	;; [unrolled: 5-line block ×3, first 2 shown]
	ds_read2_b32 v[38:39], v34 offset1:32
	s_waitcnt lgkmcnt(1)
	v_mul_lo_u32 v40, v44, v40
	v_mul_lo_u32 v41, v45, v41
	v_add3_u32 v37, v37, v40, v41
	ds_read2_b32 v[40:41], v34 offset0:64 offset1:96
	s_waitcnt lgkmcnt(1)
	v_mul_lo_u32 v38, v46, v38
	v_mul_lo_u32 v39, v47, v39
	v_add3_u32 v37, v37, v38, v39
	ds_read2_b32 v[38:39], v34 offset0:128 offset1:160
	s_waitcnt lgkmcnt(1)
	v_mul_lo_u32 v40, v48, v40
	v_mul_lo_u32 v41, v49, v41
	ds_read2_b32 v[42:43], v34 offset0:192 offset1:224
	v_add3_u32 v37, v37, v40, v41
	s_waitcnt lgkmcnt(1)
	v_mul_lo_u32 v38, v50, v38
	v_mul_lo_u32 v39, v51, v39
	v_add3_u32 v37, v37, v38, v39
	ds_read2_b32 v[46:47], v35 offset1:32
	ds_read_b128 v[38:41], v32 offset:4160
	s_waitcnt lgkmcnt(2)
	v_mul_lo_u32 v42, v52, v42
	v_mul_lo_u32 v43, v53, v43
	v_add3_u32 v37, v37, v42, v43
	ds_read2_b32 v[48:49], v35 offset0:64 offset1:96
	ds_read_b128 v[42:45], v32 offset:4176
	s_waitcnt lgkmcnt(2)
	v_mul_lo_u32 v38, v38, v46
	v_mul_lo_u32 v39, v39, v47
	v_add3_u32 v37, v37, v38, v39
	ds_read2_b32 v[38:39], v35 offset0:128 offset1:160
	ds_read2_b32 v[46:47], v35 offset0:192 offset1:224
	s_waitcnt lgkmcnt(3)
	v_mul_lo_u32 v40, v40, v48
	v_mul_lo_u32 v41, v41, v49
	v_add3_u32 v37, v37, v40, v41
	s_waitcnt lgkmcnt(1)
	v_mul_lo_u32 v39, v43, v39
	v_mul_lo_u32 v38, v42, v38
	v_add3_u32 v37, v37, v38, v39
	ds_read2_b32 v[48:49], v36 offset1:32
	ds_read_b128 v[38:41], v32 offset:4192
	s_waitcnt lgkmcnt(2)
	v_mul_lo_u32 v42, v45, v47
	v_mul_lo_u32 v43, v44, v46
	v_add3_u32 v37, v37, v43, v42
	ds_read2_b32 v[46:47], v36 offset0:64 offset1:96
	ds_read_b128 v[42:45], v32 offset:4208
	s_waitcnt lgkmcnt(2)
	v_mul_lo_u32 v39, v39, v49
	v_mul_lo_u32 v38, v38, v48
	v_add3_u32 v37, v37, v38, v39
	ds_read2_b32 v[38:39], v36 offset0:128 offset1:160
	s_waitcnt lgkmcnt(2)
	v_mul_lo_u32 v47, v41, v47
	v_mul_lo_u32 v46, v40, v46
	ds_read2_b32 v[40:41], v36 offset0:192 offset1:224
	v_add3_u32 v37, v37, v46, v47
	s_waitcnt lgkmcnt(1)
	v_mul_lo_u32 v39, v43, v39
	v_mul_lo_u32 v38, v42, v38
	v_add3_u32 v37, v37, v38, v39
	s_waitcnt lgkmcnt(0)
	v_mul_lo_u32 v38, v45, v41
	v_mul_lo_u32 v39, v44, v40
	v_add3_u32 v37, v37, v39, v38
	s_branch .LBB1_20
.LBB1_39:                               ;   in Loop: Header=BB1_16 Depth=1
	v_lshl_add_u64 v[22:23], v[18:19], 0, s[30:31]
	s_mov_b64 s[6:7], -1
	s_and_b64 vcc, exec, s[24:25]
                                        ; implicit-def: $vgpr20_vgpr21
	s_cbranch_vccnz .LBB1_42
; %bb.40:                               ;   in Loop: Header=BB1_16 Depth=1
	s_andn2_b64 vcc, exec, s[6:7]
	s_cbranch_vccz .LBB1_43
.LBB1_41:                               ;   in Loop: Header=BB1_16 Depth=1
	v_cmp_gt_i64_e32 vcc, s[26:27], v[18:19]
	s_and_b64 s[48:49], s[36:37], vcc
	s_and_saveexec_b64 s[6:7], s[48:49]
	s_cbranch_execz .LBB1_15
	s_branch .LBB1_44
.LBB1_42:                               ;   in Loop: Header=BB1_16 Depth=1
	v_mad_u64_u32 v[20:21], s[6:7], v22, s22, v[4:5]
	v_mul_lo_u32 v24, v22, s23
	v_mul_lo_u32 v25, v23, s22
	v_add3_u32 v21, v25, v21, v24
	s_cbranch_execnz .LBB1_41
.LBB1_43:                               ;   in Loop: Header=BB1_16 Depth=1
	v_lshl_add_u64 v[20:21], v[22:23], 0, v[8:9]
	v_cmp_gt_i64_e32 vcc, s[26:27], v[18:19]
	s_and_b64 s[48:49], s[36:37], vcc
	s_and_saveexec_b64 s[6:7], s[48:49]
	s_cbranch_execz .LBB1_15
.LBB1_44:                               ;   in Loop: Header=BB1_16 Depth=1
	s_and_b64 vcc, exec, s[38:39]
	v_mul_lo_u32 v18, v37, s33
	v_lshl_add_u64 v[20:21], v[20:21], 2, s[20:21]
	s_cbranch_vccz .LBB1_46
; %bb.45:                               ;   in Loop: Header=BB1_16 Depth=1
	global_load_dword v19, v[20:21], off
	s_waitcnt vmcnt(0)
	v_mad_u64_u32 v[22:23], s[48:49], v19, s58, v[18:19]
	global_store_dword v[20:21], v22, off
	s_cbranch_execnz .LBB1_15
	s_branch .LBB1_47
.LBB1_46:                               ;   in Loop: Header=BB1_16 Depth=1
.LBB1_47:                               ;   in Loop: Header=BB1_16 Depth=1
	global_store_dword v[20:21], v18, off
	s_branch .LBB1_15
.LBB1_48:
	s_endpgm
.LBB1_49:
                                        ; implicit-def: $sgpr28_sgpr29
	s_branch .LBB1_12
	.section	.rodata,"a",@progbits
	.p2align	6, 0x0
	.amdhsa_kernel _ZN9rocsparseL30bellmm_general_blockdim_kernelILi32ELi32EiliiiEEv20rocsparse_operation_S1_20rocsparse_direction_T2_S3_NS_24const_host_device_scalarIT1_EES3_S3_PKS3_PKT3_PKT4_l16rocsparse_order_S6_PT5_lSF_21rocsparse_index_base_b
		.amdhsa_group_segment_fixed_size 8192
		.amdhsa_private_segment_fixed_size 0
		.amdhsa_kernarg_size 132
		.amdhsa_user_sgpr_count 2
		.amdhsa_user_sgpr_dispatch_ptr 0
		.amdhsa_user_sgpr_queue_ptr 0
		.amdhsa_user_sgpr_kernarg_segment_ptr 1
		.amdhsa_user_sgpr_dispatch_id 0
		.amdhsa_user_sgpr_kernarg_preload_length 0
		.amdhsa_user_sgpr_kernarg_preload_offset 0
		.amdhsa_user_sgpr_private_segment_size 0
		.amdhsa_uses_dynamic_stack 0
		.amdhsa_enable_private_segment 0
		.amdhsa_system_sgpr_workgroup_id_x 1
		.amdhsa_system_sgpr_workgroup_id_y 1
		.amdhsa_system_sgpr_workgroup_id_z 0
		.amdhsa_system_sgpr_workgroup_info 0
		.amdhsa_system_vgpr_workitem_id 1
		.amdhsa_next_free_vgpr 58
		.amdhsa_next_free_sgpr 59
		.amdhsa_accum_offset 60
		.amdhsa_reserve_vcc 1
		.amdhsa_float_round_mode_32 0
		.amdhsa_float_round_mode_16_64 0
		.amdhsa_float_denorm_mode_32 3
		.amdhsa_float_denorm_mode_16_64 3
		.amdhsa_dx10_clamp 1
		.amdhsa_ieee_mode 1
		.amdhsa_fp16_overflow 0
		.amdhsa_tg_split 0
		.amdhsa_exception_fp_ieee_invalid_op 0
		.amdhsa_exception_fp_denorm_src 0
		.amdhsa_exception_fp_ieee_div_zero 0
		.amdhsa_exception_fp_ieee_overflow 0
		.amdhsa_exception_fp_ieee_underflow 0
		.amdhsa_exception_fp_ieee_inexact 0
		.amdhsa_exception_int_div_zero 0
	.end_amdhsa_kernel
	.section	.text._ZN9rocsparseL30bellmm_general_blockdim_kernelILi32ELi32EiliiiEEv20rocsparse_operation_S1_20rocsparse_direction_T2_S3_NS_24const_host_device_scalarIT1_EES3_S3_PKS3_PKT3_PKT4_l16rocsparse_order_S6_PT5_lSF_21rocsparse_index_base_b,"axG",@progbits,_ZN9rocsparseL30bellmm_general_blockdim_kernelILi32ELi32EiliiiEEv20rocsparse_operation_S1_20rocsparse_direction_T2_S3_NS_24const_host_device_scalarIT1_EES3_S3_PKS3_PKT3_PKT4_l16rocsparse_order_S6_PT5_lSF_21rocsparse_index_base_b,comdat
.Lfunc_end1:
	.size	_ZN9rocsparseL30bellmm_general_blockdim_kernelILi32ELi32EiliiiEEv20rocsparse_operation_S1_20rocsparse_direction_T2_S3_NS_24const_host_device_scalarIT1_EES3_S3_PKS3_PKT3_PKT4_l16rocsparse_order_S6_PT5_lSF_21rocsparse_index_base_b, .Lfunc_end1-_ZN9rocsparseL30bellmm_general_blockdim_kernelILi32ELi32EiliiiEEv20rocsparse_operation_S1_20rocsparse_direction_T2_S3_NS_24const_host_device_scalarIT1_EES3_S3_PKS3_PKT3_PKT4_l16rocsparse_order_S6_PT5_lSF_21rocsparse_index_base_b
                                        ; -- End function
	.set _ZN9rocsparseL30bellmm_general_blockdim_kernelILi32ELi32EiliiiEEv20rocsparse_operation_S1_20rocsparse_direction_T2_S3_NS_24const_host_device_scalarIT1_EES3_S3_PKS3_PKT3_PKT4_l16rocsparse_order_S6_PT5_lSF_21rocsparse_index_base_b.num_vgpr, 58
	.set _ZN9rocsparseL30bellmm_general_blockdim_kernelILi32ELi32EiliiiEEv20rocsparse_operation_S1_20rocsparse_direction_T2_S3_NS_24const_host_device_scalarIT1_EES3_S3_PKS3_PKT3_PKT4_l16rocsparse_order_S6_PT5_lSF_21rocsparse_index_base_b.num_agpr, 0
	.set _ZN9rocsparseL30bellmm_general_blockdim_kernelILi32ELi32EiliiiEEv20rocsparse_operation_S1_20rocsparse_direction_T2_S3_NS_24const_host_device_scalarIT1_EES3_S3_PKS3_PKT3_PKT4_l16rocsparse_order_S6_PT5_lSF_21rocsparse_index_base_b.numbered_sgpr, 59
	.set _ZN9rocsparseL30bellmm_general_blockdim_kernelILi32ELi32EiliiiEEv20rocsparse_operation_S1_20rocsparse_direction_T2_S3_NS_24const_host_device_scalarIT1_EES3_S3_PKS3_PKT3_PKT4_l16rocsparse_order_S6_PT5_lSF_21rocsparse_index_base_b.num_named_barrier, 0
	.set _ZN9rocsparseL30bellmm_general_blockdim_kernelILi32ELi32EiliiiEEv20rocsparse_operation_S1_20rocsparse_direction_T2_S3_NS_24const_host_device_scalarIT1_EES3_S3_PKS3_PKT3_PKT4_l16rocsparse_order_S6_PT5_lSF_21rocsparse_index_base_b.private_seg_size, 0
	.set _ZN9rocsparseL30bellmm_general_blockdim_kernelILi32ELi32EiliiiEEv20rocsparse_operation_S1_20rocsparse_direction_T2_S3_NS_24const_host_device_scalarIT1_EES3_S3_PKS3_PKT3_PKT4_l16rocsparse_order_S6_PT5_lSF_21rocsparse_index_base_b.uses_vcc, 1
	.set _ZN9rocsparseL30bellmm_general_blockdim_kernelILi32ELi32EiliiiEEv20rocsparse_operation_S1_20rocsparse_direction_T2_S3_NS_24const_host_device_scalarIT1_EES3_S3_PKS3_PKT3_PKT4_l16rocsparse_order_S6_PT5_lSF_21rocsparse_index_base_b.uses_flat_scratch, 0
	.set _ZN9rocsparseL30bellmm_general_blockdim_kernelILi32ELi32EiliiiEEv20rocsparse_operation_S1_20rocsparse_direction_T2_S3_NS_24const_host_device_scalarIT1_EES3_S3_PKS3_PKT3_PKT4_l16rocsparse_order_S6_PT5_lSF_21rocsparse_index_base_b.has_dyn_sized_stack, 0
	.set _ZN9rocsparseL30bellmm_general_blockdim_kernelILi32ELi32EiliiiEEv20rocsparse_operation_S1_20rocsparse_direction_T2_S3_NS_24const_host_device_scalarIT1_EES3_S3_PKS3_PKT3_PKT4_l16rocsparse_order_S6_PT5_lSF_21rocsparse_index_base_b.has_recursion, 0
	.set _ZN9rocsparseL30bellmm_general_blockdim_kernelILi32ELi32EiliiiEEv20rocsparse_operation_S1_20rocsparse_direction_T2_S3_NS_24const_host_device_scalarIT1_EES3_S3_PKS3_PKT3_PKT4_l16rocsparse_order_S6_PT5_lSF_21rocsparse_index_base_b.has_indirect_call, 0
	.section	.AMDGPU.csdata,"",@progbits
; Kernel info:
; codeLenInByte = 2796
; TotalNumSgprs: 65
; NumVgprs: 58
; NumAgprs: 0
; TotalNumVgprs: 58
; ScratchSize: 0
; MemoryBound: 0
; FloatMode: 240
; IeeeMode: 1
; LDSByteSize: 8192 bytes/workgroup (compile time only)
; SGPRBlocks: 8
; VGPRBlocks: 7
; NumSGPRsForWavesPerEU: 65
; NumVGPRsForWavesPerEU: 58
; AccumOffset: 60
; Occupancy: 8
; WaveLimiterHint : 1
; COMPUTE_PGM_RSRC2:SCRATCH_EN: 0
; COMPUTE_PGM_RSRC2:USER_SGPR: 2
; COMPUTE_PGM_RSRC2:TRAP_HANDLER: 0
; COMPUTE_PGM_RSRC2:TGID_X_EN: 1
; COMPUTE_PGM_RSRC2:TGID_Y_EN: 1
; COMPUTE_PGM_RSRC2:TGID_Z_EN: 0
; COMPUTE_PGM_RSRC2:TIDIG_COMP_CNT: 1
; COMPUTE_PGM_RSRC3_GFX90A:ACCUM_OFFSET: 14
; COMPUTE_PGM_RSRC3_GFX90A:TG_SPLIT: 0
	.section	.text._ZN9rocsparseL30bellmm_general_blockdim_kernelILi32ELi32EfifffEEv20rocsparse_operation_S1_20rocsparse_direction_T2_S3_NS_24const_host_device_scalarIT1_EES3_S3_PKS3_PKT3_PKT4_l16rocsparse_order_S6_PT5_lSF_21rocsparse_index_base_b,"axG",@progbits,_ZN9rocsparseL30bellmm_general_blockdim_kernelILi32ELi32EfifffEEv20rocsparse_operation_S1_20rocsparse_direction_T2_S3_NS_24const_host_device_scalarIT1_EES3_S3_PKS3_PKT3_PKT4_l16rocsparse_order_S6_PT5_lSF_21rocsparse_index_base_b,comdat
	.globl	_ZN9rocsparseL30bellmm_general_blockdim_kernelILi32ELi32EfifffEEv20rocsparse_operation_S1_20rocsparse_direction_T2_S3_NS_24const_host_device_scalarIT1_EES3_S3_PKS3_PKT3_PKT4_l16rocsparse_order_S6_PT5_lSF_21rocsparse_index_base_b ; -- Begin function _ZN9rocsparseL30bellmm_general_blockdim_kernelILi32ELi32EfifffEEv20rocsparse_operation_S1_20rocsparse_direction_T2_S3_NS_24const_host_device_scalarIT1_EES3_S3_PKS3_PKT3_PKT4_l16rocsparse_order_S6_PT5_lSF_21rocsparse_index_base_b
	.p2align	8
	.type	_ZN9rocsparseL30bellmm_general_blockdim_kernelILi32ELi32EfifffEEv20rocsparse_operation_S1_20rocsparse_direction_T2_S3_NS_24const_host_device_scalarIT1_EES3_S3_PKS3_PKT3_PKT4_l16rocsparse_order_S6_PT5_lSF_21rocsparse_index_base_b,@function
_ZN9rocsparseL30bellmm_general_blockdim_kernelILi32ELi32EfifffEEv20rocsparse_operation_S1_20rocsparse_direction_T2_S3_NS_24const_host_device_scalarIT1_EES3_S3_PKS3_PKT3_PKT4_l16rocsparse_order_S6_PT5_lSF_21rocsparse_index_base_b: ; @_ZN9rocsparseL30bellmm_general_blockdim_kernelILi32ELi32EfifffEEv20rocsparse_operation_S1_20rocsparse_direction_T2_S3_NS_24const_host_device_scalarIT1_EES3_S3_PKS3_PKT3_PKT4_l16rocsparse_order_S6_PT5_lSF_21rocsparse_index_base_b
; %bb.0:
	s_load_dwordx4 s[20:23], s[0:1], 0x68
	s_load_dwordx2 s[28:29], s[0:1], 0x18
	s_load_dwordx2 s[30:31], s[0:1], 0x50
	s_waitcnt lgkmcnt(0)
	s_bitcmp1_b32 s22, 0
	s_cselect_b64 s[6:7], -1, 0
	s_xor_b64 s[4:5], s[6:7], -1
	s_and_b64 vcc, exec, s[6:7]
	s_cbranch_vccnz .LBB2_2
; %bb.1:
	s_load_dword s28, s[28:29], 0x0
.LBB2_2:
	s_andn2_b64 vcc, exec, s[4:5]
	s_cbranch_vccnz .LBB2_4
; %bb.3:
	s_load_dword s30, s[30:31], 0x0
.LBB2_4:
	s_waitcnt lgkmcnt(0)
	v_cmp_eq_f32_e64 s[4:5], s28, 0
	v_cmp_eq_f32_e64 s[6:7], s30, 1.0
	s_and_b64 s[4:5], s[4:5], s[6:7]
	s_mov_b32 s29, 0
	s_and_b64 vcc, exec, s[4:5]
	s_cbranch_vccnz .LBB2_44
; %bb.5:
	s_load_dwordx4 s[8:11], s[0:1], 0x4
	s_load_dwordx2 s[22:23], s[0:1], 0x20
	s_waitcnt lgkmcnt(0)
	s_cmp_lt_i32 s2, s10
	s_cselect_b64 s[4:5], -1, 0
	s_cmp_ge_i32 s2, s10
	s_cbranch_scc1 .LBB2_7
; %bb.6:
	s_abs_i32 s6, s23
	v_cvt_f32_u32_e32 v1, s6
	s_sub_i32 s13, 0, s6
	s_abs_i32 s12, s22
	s_xor_b32 s7, s22, s23
	v_rcp_iflag_f32_e32 v1, v1
	s_ashr_i32 s7, s7, 31
	v_mul_f32_e32 v1, 0x4f7ffffe, v1
	v_cvt_u32_f32_e32 v1, v1
	s_nop 0
	v_readfirstlane_b32 s14, v1
	s_mul_i32 s13, s13, s14
	s_mul_hi_u32 s13, s14, s13
	s_add_i32 s14, s14, s13
	s_mul_hi_u32 s13, s12, s14
	s_mul_i32 s14, s13, s6
	s_sub_i32 s12, s12, s14
	s_add_i32 s15, s13, 1
	s_sub_i32 s14, s12, s6
	s_cmp_ge_u32 s12, s6
	s_cselect_b32 s13, s15, s13
	s_cselect_b32 s12, s14, s12
	s_add_i32 s14, s13, 1
	s_cmp_ge_u32 s12, s6
	s_cselect_b32 s6, s14, s13
	s_xor_b32 s6, s6, s7
	s_sub_i32 s29, s6, s7
.LBB2_7:
	s_cmp_lt_i32 s23, 1
	s_cbranch_scc1 .LBB2_44
; %bb.8:
	s_load_dwordx8 s[12:19], s[0:1], 0x28
	s_load_dwordx4 s[24:27], s[0:1], 0x58
	s_load_dword s31, s[0:1], 0x48
	v_bfe_u32 v14, v0, 10, 10
	v_lshl_add_u32 v2, s3, 5, v14
	s_cmp_gt_i32 s29, 0
	v_ashrrev_i32_e32 v3, 31, v2
	s_cselect_b64 s[6:7], -1, 0
	s_cmpk_eq_i32 s8, 0x6f
	v_and_b32_e32 v15, 0x3ff, v0
	s_waitcnt lgkmcnt(0)
	v_mul_lo_u32 v0, s18, v3
	v_mul_lo_u32 v1, s19, v2
	v_mad_u64_u32 v[4:5], s[0:1], s18, v2, 0
	s_cselect_b64 s[40:41], -1, 0
	s_cmp_lg_u32 s31, 1
	v_add3_u32 v5, v5, v0, v1
	s_mul_i32 s3, s23, s2
	s_cselect_b64 s[42:43], -1, 0
	s_cmp_lg_u32 s9, 0
	v_mul_lo_u32 v9, s26, v3
	v_mul_lo_u32 v10, s27, v2
	v_mad_u64_u32 v[6:7], s[8:9], s26, v2, 0
	v_lshl_add_u64 v[0:1], v[2:3], 2, s[16:17]
	v_lshlrev_b32_e32 v16, 2, v15
	v_cmp_gt_i32_e64 s[0:1], s11, v2
	v_lshl_add_u64 v[4:5], v[4:5], 2, s[16:17]
	s_cselect_b64 s[16:17], -1, 0
	s_cmp_lg_u32 s20, 1
	v_add3_u32 v7, v7, v9, v10
	v_add_u32_e32 v9, s3, v14
	v_or_b32_e32 v8, 0x1000, v16
	v_lshlrev_b32_e32 v17, 7, v14
	s_cselect_b64 s[34:35], -1, 0
	s_and_b64 s[36:37], s[4:5], s[0:1]
	s_xor_b64 s[4:5], s[40:41], s[42:43]
	v_mul_lo_u32 v18, s23, v9
	s_mul_i32 s11, s23, s23
	v_cndmask_b32_e64 v9, 0, 1, s[6:7]
	s_mov_b32 s22, 0
	v_cmp_neq_f32_e64 s[38:39], s30, 0
	s_xor_b64 s[40:41], s[4:5], -1
	s_mul_i32 s11, s11, s10
	s_lshl_b32 s20, s23, 5
	v_cmp_ne_u32_e64 s[8:9], 1, v9
	v_mov_b32_e32 v9, 0
	v_add_u32_e32 v19, v8, v17
	v_add_u32_e32 v20, v16, v17
	;; [unrolled: 1-line block ×5, first 2 shown]
	s_branch .LBB2_10
.LBB2_9:                                ;   in Loop: Header=BB2_10 Depth=1
	s_or_b64 exec, exec, s[4:5]
	s_add_i32 s22, s22, 32
	s_cmp_lt_i32 s22, s23
	v_add_u32_e32 v18, 32, v18
	s_cbranch_scc0 .LBB2_44
.LBB2_10:                               ; =>This Loop Header: Depth=1
                                        ;     Child Loop BB2_13 Depth 2
                                        ;       Child Loop BB2_15 Depth 3
	v_add_u32_e32 v25, s22, v15
	s_and_b64 vcc, exec, s[8:9]
	v_cmp_gt_i32_e64 s[4:5], s23, v25
	v_mov_b32_e32 v24, v9
	s_cbranch_vccnz .LBB2_35
; %bb.11:                               ;   in Loop: Header=BB2_10 Depth=1
	s_mov_b32 s31, 0
	v_mov_b32_e32 v24, 0
	v_mov_b32_e32 v12, v18
	s_branch .LBB2_13
.LBB2_12:                               ;   in Loop: Header=BB2_13 Depth=2
	s_add_i32 s31, s31, 1
	s_cmp_eq_u32 s31, s29
	v_add_u32_e32 v12, s11, v12
	s_cbranch_scc1 .LBB2_35
.LBB2_13:                               ;   Parent Loop BB2_10 Depth=1
                                        ; =>  This Loop Header: Depth=2
                                        ;       Child Loop BB2_15 Depth 3
	s_mul_i32 s6, s31, s10
	s_add_i32 s6, s6, s2
	s_ashr_i32 s7, s6, 31
	s_lshl_b64 s[42:43], s[6:7], 2
	s_add_u32 s42, s12, s42
	s_addc_u32 s43, s13, s43
	s_load_dword s7, s[42:43], 0x0
	s_mul_i32 s6, s6, s23
	v_add_u32_e32 v8, s6, v25
	v_mul_lo_u32 v13, v8, s23
	v_add_u32_e32 v27, v15, v12
	s_waitcnt lgkmcnt(0)
	s_sub_i32 s6, s7, s21
	s_cmp_gt_i32 s6, -1
	s_cselect_b64 s[42:43], -1, 0
	s_mul_i32 s6, s6, s23
	v_cndmask_b32_e64 v8, 0, 1, s[42:43]
	v_add_u32_e32 v26, s6, v15
	v_cmp_ne_u32_e64 s[6:7], 1, v8
	s_mov_b32 s33, 0
	s_mov_b32 s52, 0
	s_branch .LBB2_15
.LBB2_14:                               ;   in Loop: Header=BB2_15 Depth=3
	s_add_i32 s52, s52, 32
	s_add_i32 s33, s33, s20
	s_cmp_ge_i32 s52, s23
	s_barrier
	s_cbranch_scc1 .LBB2_12
.LBB2_15:                               ;   Parent Loop BB2_10 Depth=1
                                        ;     Parent Loop BB2_13 Depth=2
                                        ; =>    This Inner Loop Header: Depth=3
	v_add_u32_e32 v8, s52, v15
	v_cmp_gt_i32_e32 vcc, s23, v8
	s_and_b64 s[44:45], s[0:1], vcc
	s_and_b64 s[44:45], s[44:45], s[42:43]
	s_mov_b64 s[46:47], -1
	s_and_b64 vcc, exec, s[40:41]
                                        ; implicit-def: $vgpr10
	s_cbranch_vccz .LBB2_19
; %bb.16:                               ;   in Loop: Header=BB2_15 Depth=3
	v_mov_b32_e32 v10, 0
	s_and_saveexec_b64 s[46:47], s[44:45]
	s_cbranch_execz .LBB2_18
; %bb.17:                               ;   in Loop: Header=BB2_15 Depth=3
	v_add_u32_e32 v28, s52, v26
	v_mad_u64_u32 v[10:11], s[48:49], s18, v28, 0
	v_mov_b32_e32 v8, v11
	v_mad_u64_u32 v[28:29], s[48:49], s19, v28, v[8:9]
	v_mov_b32_e32 v11, v28
	v_lshl_add_u64 v[10:11], v[10:11], 2, v[0:1]
	global_load_dword v10, v[10:11], off
.LBB2_18:                               ;   in Loop: Header=BB2_15 Depth=3
	s_or_b64 exec, exec, s[46:47]
	s_mov_b64 s[46:47], 0
.LBB2_19:                               ;   in Loop: Header=BB2_15 Depth=3
	s_andn2_b64 vcc, exec, s[46:47]
	s_cbranch_vccnz .LBB2_23
; %bb.20:                               ;   in Loop: Header=BB2_15 Depth=3
	s_waitcnt vmcnt(0)
	v_mov_b32_e32 v10, 0
	s_and_saveexec_b64 s[46:47], s[44:45]
	s_cbranch_execz .LBB2_22
; %bb.21:                               ;   in Loop: Header=BB2_15 Depth=3
	v_add_u32_e32 v8, s52, v26
	v_lshl_add_u64 v[10:11], v[8:9], 2, v[4:5]
	global_load_dword v10, v[10:11], off
.LBB2_22:                               ;   in Loop: Header=BB2_15 Depth=3
	s_or_b64 exec, exec, s[46:47]
.LBB2_23:                               ;   in Loop: Header=BB2_15 Depth=3
	v_add_u32_e32 v8, s52, v14
	v_cmp_gt_i32_e32 vcc, s23, v8
	s_and_b64 s[44:45], s[4:5], vcc
	s_and_b64 s[46:47], s[44:45], s[42:43]
	s_and_b64 vcc, exec, s[16:17]
	s_waitcnt vmcnt(0)
	ds_write_b32 v19, v10
	s_cbranch_vccz .LBB2_31
; %bb.24:                               ;   in Loop: Header=BB2_15 Depth=3
	s_mov_b64 s[48:49], 0
	s_mov_b64 s[44:45], 0
                                        ; implicit-def: $vgpr10
	s_and_saveexec_b64 s[50:51], s[46:47]
	s_xor_b64 s[50:51], exec, s[50:51]
; %bb.25:                               ;   in Loop: Header=BB2_15 Depth=3
	s_mov_b64 s[44:45], exec
	v_add_u32_e32 v10, s33, v27
; %bb.26:                               ;   in Loop: Header=BB2_15 Depth=3
	s_or_b64 exec, exec, s[50:51]
	s_and_b64 vcc, exec, s[48:49]
	s_cbranch_vccnz .LBB2_32
.LBB2_27:                               ;   in Loop: Header=BB2_15 Depth=3
	v_mov_b32_e32 v8, 0
	s_and_saveexec_b64 s[46:47], s[44:45]
	s_cbranch_execz .LBB2_29
.LBB2_28:                               ;   in Loop: Header=BB2_15 Depth=3
	v_ashrrev_i32_e32 v11, 31, v10
	v_lshl_add_u64 v[10:11], v[10:11], 2, s[14:15]
	global_load_dword v8, v[10:11], off
.LBB2_29:                               ;   in Loop: Header=BB2_15 Depth=3
	s_or_b64 exec, exec, s[46:47]
	s_and_b64 vcc, exec, s[6:7]
	s_waitcnt vmcnt(0)
	ds_write_b32 v20, v8
	s_waitcnt lgkmcnt(0)
	s_barrier
	s_cbranch_vccnz .LBB2_14
; %bb.30:                               ;   in Loop: Header=BB2_15 Depth=3
	ds_read2_b32 v[10:11], v16 offset1:32
	ds_read_b128 v[28:31], v17 offset:4096
	ds_read_b128 v[32:35], v17 offset:4112
	ds_read2_b32 v[44:45], v16 offset0:64 offset1:96
	ds_read_b128 v[36:39], v17 offset:4128
	ds_read_b128 v[40:43], v17 offset:4144
	ds_read2_b32 v[46:47], v16 offset0:128 offset1:160
	s_waitcnt lgkmcnt(5)
	v_fmac_f32_e32 v24, v10, v28
	v_fmac_f32_e32 v24, v11, v29
	ds_read2_b32 v[10:11], v16 offset0:192 offset1:224
	s_waitcnt lgkmcnt(4)
	v_fmac_f32_e32 v24, v44, v30
	v_fmac_f32_e32 v24, v45, v31
	ds_read2_b32 v[28:29], v21 offset1:32
	s_waitcnt lgkmcnt(2)
	v_fmac_f32_e32 v24, v46, v32
	v_fmac_f32_e32 v24, v47, v33
	ds_read2_b32 v[30:31], v21 offset0:64 offset1:96
	s_waitcnt lgkmcnt(2)
	v_fmac_f32_e32 v24, v10, v34
	v_fmac_f32_e32 v24, v11, v35
	ds_read2_b32 v[10:11], v21 offset0:128 offset1:160
	s_waitcnt lgkmcnt(2)
	v_fmac_f32_e32 v24, v28, v36
	v_fmac_f32_e32 v24, v29, v37
	s_waitcnt lgkmcnt(1)
	v_fmac_f32_e32 v24, v30, v38
	ds_read2_b32 v[32:33], v21 offset0:192 offset1:224
	v_fmac_f32_e32 v24, v31, v39
	s_waitcnt lgkmcnt(1)
	v_fmac_f32_e32 v24, v10, v40
	v_fmac_f32_e32 v24, v11, v41
	ds_read2_b32 v[10:11], v22 offset1:32
	ds_read_b128 v[28:31], v17 offset:4160
	s_waitcnt lgkmcnt(2)
	v_fmac_f32_e32 v24, v32, v42
	v_fmac_f32_e32 v24, v33, v43
	ds_read2_b32 v[36:37], v22 offset0:64 offset1:96
	ds_read_b128 v[32:35], v17 offset:4176
	ds_read2_b32 v[38:39], v22 offset0:128 offset1:160
	s_waitcnt lgkmcnt(3)
	v_fmac_f32_e32 v24, v10, v28
	v_fmac_f32_e32 v24, v11, v29
	ds_read2_b32 v[10:11], v22 offset0:192 offset1:224
	s_waitcnt lgkmcnt(3)
	v_fmac_f32_e32 v24, v36, v30
	v_fmac_f32_e32 v24, v37, v31
	s_waitcnt lgkmcnt(1)
	v_fmac_f32_e32 v24, v38, v32
	ds_read2_b32 v[36:37], v23 offset1:32
	ds_read_b128 v[28:31], v17 offset:4192
	v_fmac_f32_e32 v24, v39, v33
	s_waitcnt lgkmcnt(2)
	v_fmac_f32_e32 v24, v10, v34
	v_fmac_f32_e32 v24, v11, v35
	ds_read2_b32 v[10:11], v23 offset0:64 offset1:96
	ds_read_b128 v[32:35], v17 offset:4208
	ds_read2_b32 v[38:39], v23 offset0:128 offset1:160
	s_waitcnt lgkmcnt(3)
	v_fmac_f32_e32 v24, v36, v28
	v_fmac_f32_e32 v24, v37, v29
	ds_read2_b32 v[28:29], v23 offset0:192 offset1:224
	s_waitcnt lgkmcnt(3)
	v_fmac_f32_e32 v24, v10, v30
	v_fmac_f32_e32 v24, v11, v31
	s_waitcnt lgkmcnt(1)
	v_fmac_f32_e32 v24, v38, v32
	v_fmac_f32_e32 v24, v39, v33
	;; [unrolled: 3-line block ×3, first 2 shown]
	s_branch .LBB2_14
.LBB2_31:                               ;   in Loop: Header=BB2_15 Depth=3
	s_mov_b64 s[44:45], 0
                                        ; implicit-def: $vgpr10
	s_cbranch_execz .LBB2_27
.LBB2_32:                               ;   in Loop: Header=BB2_15 Depth=3
                                        ; implicit-def: $vgpr10
	s_and_saveexec_b64 s[48:49], s[46:47]
; %bb.33:                               ;   in Loop: Header=BB2_15 Depth=3
	v_add_u32_e32 v10, v8, v13
	s_or_b64 s[44:45], s[44:45], exec
; %bb.34:                               ;   in Loop: Header=BB2_15 Depth=3
	s_or_b64 exec, exec, s[48:49]
	v_mov_b32_e32 v8, 0
	s_and_saveexec_b64 s[46:47], s[44:45]
	s_cbranch_execnz .LBB2_28
	s_branch .LBB2_29
.LBB2_35:                               ;   in Loop: Header=BB2_10 Depth=1
	v_add_u32_e32 v12, s3, v25
	v_ashrrev_i32_e32 v13, 31, v12
	s_mov_b64 s[4:5], -1
	s_and_b64 vcc, exec, s[34:35]
                                        ; implicit-def: $vgpr10_vgpr11
	s_cbranch_vccnz .LBB2_38
; %bb.36:                               ;   in Loop: Header=BB2_10 Depth=1
	s_andn2_b64 vcc, exec, s[4:5]
	s_cbranch_vccz .LBB2_39
.LBB2_37:                               ;   in Loop: Header=BB2_10 Depth=1
	v_cmp_gt_i32_e32 vcc, s23, v25
	s_and_b64 s[6:7], s[36:37], vcc
	s_and_saveexec_b64 s[4:5], s[6:7]
	s_cbranch_execz .LBB2_9
	s_branch .LBB2_40
.LBB2_38:                               ;   in Loop: Header=BB2_10 Depth=1
	v_mad_u64_u32 v[10:11], s[4:5], s26, v12, v[2:3]
	v_mul_lo_u32 v8, s26, v13
	v_mul_lo_u32 v26, s27, v12
	v_add3_u32 v11, v26, v11, v8
	s_cbranch_execnz .LBB2_37
.LBB2_39:                               ;   in Loop: Header=BB2_10 Depth=1
	v_lshl_add_u64 v[10:11], v[6:7], 0, v[12:13]
	v_cmp_gt_i32_e32 vcc, s23, v25
	s_and_b64 s[6:7], s[36:37], vcc
	s_and_saveexec_b64 s[4:5], s[6:7]
	s_cbranch_execz .LBB2_9
.LBB2_40:                               ;   in Loop: Header=BB2_10 Depth=1
	s_and_b64 vcc, exec, s[38:39]
	v_mul_f32_e32 v8, s28, v24
	v_lshl_add_u64 v[10:11], v[10:11], 2, s[24:25]
	s_cbranch_vccz .LBB2_42
; %bb.41:                               ;   in Loop: Header=BB2_10 Depth=1
	global_load_dword v12, v[10:11], off
	s_waitcnt vmcnt(0)
	v_fma_f32 v12, s30, v12, v8
	global_store_dword v[10:11], v12, off
	s_cbranch_execnz .LBB2_9
	s_branch .LBB2_43
.LBB2_42:                               ;   in Loop: Header=BB2_10 Depth=1
.LBB2_43:                               ;   in Loop: Header=BB2_10 Depth=1
	global_store_dword v[10:11], v8, off
	s_branch .LBB2_9
.LBB2_44:
	s_endpgm
	.section	.rodata,"a",@progbits
	.p2align	6, 0x0
	.amdhsa_kernel _ZN9rocsparseL30bellmm_general_blockdim_kernelILi32ELi32EfifffEEv20rocsparse_operation_S1_20rocsparse_direction_T2_S3_NS_24const_host_device_scalarIT1_EES3_S3_PKS3_PKT3_PKT4_l16rocsparse_order_S6_PT5_lSF_21rocsparse_index_base_b
		.amdhsa_group_segment_fixed_size 8192
		.amdhsa_private_segment_fixed_size 0
		.amdhsa_kernarg_size 116
		.amdhsa_user_sgpr_count 2
		.amdhsa_user_sgpr_dispatch_ptr 0
		.amdhsa_user_sgpr_queue_ptr 0
		.amdhsa_user_sgpr_kernarg_segment_ptr 1
		.amdhsa_user_sgpr_dispatch_id 0
		.amdhsa_user_sgpr_kernarg_preload_length 0
		.amdhsa_user_sgpr_kernarg_preload_offset 0
		.amdhsa_user_sgpr_private_segment_size 0
		.amdhsa_uses_dynamic_stack 0
		.amdhsa_enable_private_segment 0
		.amdhsa_system_sgpr_workgroup_id_x 1
		.amdhsa_system_sgpr_workgroup_id_y 1
		.amdhsa_system_sgpr_workgroup_id_z 0
		.amdhsa_system_sgpr_workgroup_info 0
		.amdhsa_system_vgpr_workitem_id 1
		.amdhsa_next_free_vgpr 48
		.amdhsa_next_free_sgpr 53
		.amdhsa_accum_offset 48
		.amdhsa_reserve_vcc 1
		.amdhsa_float_round_mode_32 0
		.amdhsa_float_round_mode_16_64 0
		.amdhsa_float_denorm_mode_32 3
		.amdhsa_float_denorm_mode_16_64 3
		.amdhsa_dx10_clamp 1
		.amdhsa_ieee_mode 1
		.amdhsa_fp16_overflow 0
		.amdhsa_tg_split 0
		.amdhsa_exception_fp_ieee_invalid_op 0
		.amdhsa_exception_fp_denorm_src 0
		.amdhsa_exception_fp_ieee_div_zero 0
		.amdhsa_exception_fp_ieee_overflow 0
		.amdhsa_exception_fp_ieee_underflow 0
		.amdhsa_exception_fp_ieee_inexact 0
		.amdhsa_exception_int_div_zero 0
	.end_amdhsa_kernel
	.section	.text._ZN9rocsparseL30bellmm_general_blockdim_kernelILi32ELi32EfifffEEv20rocsparse_operation_S1_20rocsparse_direction_T2_S3_NS_24const_host_device_scalarIT1_EES3_S3_PKS3_PKT3_PKT4_l16rocsparse_order_S6_PT5_lSF_21rocsparse_index_base_b,"axG",@progbits,_ZN9rocsparseL30bellmm_general_blockdim_kernelILi32ELi32EfifffEEv20rocsparse_operation_S1_20rocsparse_direction_T2_S3_NS_24const_host_device_scalarIT1_EES3_S3_PKS3_PKT3_PKT4_l16rocsparse_order_S6_PT5_lSF_21rocsparse_index_base_b,comdat
.Lfunc_end2:
	.size	_ZN9rocsparseL30bellmm_general_blockdim_kernelILi32ELi32EfifffEEv20rocsparse_operation_S1_20rocsparse_direction_T2_S3_NS_24const_host_device_scalarIT1_EES3_S3_PKS3_PKT3_PKT4_l16rocsparse_order_S6_PT5_lSF_21rocsparse_index_base_b, .Lfunc_end2-_ZN9rocsparseL30bellmm_general_blockdim_kernelILi32ELi32EfifffEEv20rocsparse_operation_S1_20rocsparse_direction_T2_S3_NS_24const_host_device_scalarIT1_EES3_S3_PKS3_PKT3_PKT4_l16rocsparse_order_S6_PT5_lSF_21rocsparse_index_base_b
                                        ; -- End function
	.set _ZN9rocsparseL30bellmm_general_blockdim_kernelILi32ELi32EfifffEEv20rocsparse_operation_S1_20rocsparse_direction_T2_S3_NS_24const_host_device_scalarIT1_EES3_S3_PKS3_PKT3_PKT4_l16rocsparse_order_S6_PT5_lSF_21rocsparse_index_base_b.num_vgpr, 48
	.set _ZN9rocsparseL30bellmm_general_blockdim_kernelILi32ELi32EfifffEEv20rocsparse_operation_S1_20rocsparse_direction_T2_S3_NS_24const_host_device_scalarIT1_EES3_S3_PKS3_PKT3_PKT4_l16rocsparse_order_S6_PT5_lSF_21rocsparse_index_base_b.num_agpr, 0
	.set _ZN9rocsparseL30bellmm_general_blockdim_kernelILi32ELi32EfifffEEv20rocsparse_operation_S1_20rocsparse_direction_T2_S3_NS_24const_host_device_scalarIT1_EES3_S3_PKS3_PKT3_PKT4_l16rocsparse_order_S6_PT5_lSF_21rocsparse_index_base_b.numbered_sgpr, 53
	.set _ZN9rocsparseL30bellmm_general_blockdim_kernelILi32ELi32EfifffEEv20rocsparse_operation_S1_20rocsparse_direction_T2_S3_NS_24const_host_device_scalarIT1_EES3_S3_PKS3_PKT3_PKT4_l16rocsparse_order_S6_PT5_lSF_21rocsparse_index_base_b.num_named_barrier, 0
	.set _ZN9rocsparseL30bellmm_general_blockdim_kernelILi32ELi32EfifffEEv20rocsparse_operation_S1_20rocsparse_direction_T2_S3_NS_24const_host_device_scalarIT1_EES3_S3_PKS3_PKT3_PKT4_l16rocsparse_order_S6_PT5_lSF_21rocsparse_index_base_b.private_seg_size, 0
	.set _ZN9rocsparseL30bellmm_general_blockdim_kernelILi32ELi32EfifffEEv20rocsparse_operation_S1_20rocsparse_direction_T2_S3_NS_24const_host_device_scalarIT1_EES3_S3_PKS3_PKT3_PKT4_l16rocsparse_order_S6_PT5_lSF_21rocsparse_index_base_b.uses_vcc, 1
	.set _ZN9rocsparseL30bellmm_general_blockdim_kernelILi32ELi32EfifffEEv20rocsparse_operation_S1_20rocsparse_direction_T2_S3_NS_24const_host_device_scalarIT1_EES3_S3_PKS3_PKT3_PKT4_l16rocsparse_order_S6_PT5_lSF_21rocsparse_index_base_b.uses_flat_scratch, 0
	.set _ZN9rocsparseL30bellmm_general_blockdim_kernelILi32ELi32EfifffEEv20rocsparse_operation_S1_20rocsparse_direction_T2_S3_NS_24const_host_device_scalarIT1_EES3_S3_PKS3_PKT3_PKT4_l16rocsparse_order_S6_PT5_lSF_21rocsparse_index_base_b.has_dyn_sized_stack, 0
	.set _ZN9rocsparseL30bellmm_general_blockdim_kernelILi32ELi32EfifffEEv20rocsparse_operation_S1_20rocsparse_direction_T2_S3_NS_24const_host_device_scalarIT1_EES3_S3_PKS3_PKT3_PKT4_l16rocsparse_order_S6_PT5_lSF_21rocsparse_index_base_b.has_recursion, 0
	.set _ZN9rocsparseL30bellmm_general_blockdim_kernelILi32ELi32EfifffEEv20rocsparse_operation_S1_20rocsparse_direction_T2_S3_NS_24const_host_device_scalarIT1_EES3_S3_PKS3_PKT3_PKT4_l16rocsparse_order_S6_PT5_lSF_21rocsparse_index_base_b.has_indirect_call, 0
	.section	.AMDGPU.csdata,"",@progbits
; Kernel info:
; codeLenInByte = 1656
; TotalNumSgprs: 59
; NumVgprs: 48
; NumAgprs: 0
; TotalNumVgprs: 48
; ScratchSize: 0
; MemoryBound: 0
; FloatMode: 240
; IeeeMode: 1
; LDSByteSize: 8192 bytes/workgroup (compile time only)
; SGPRBlocks: 7
; VGPRBlocks: 5
; NumSGPRsForWavesPerEU: 59
; NumVGPRsForWavesPerEU: 48
; AccumOffset: 48
; Occupancy: 8
; WaveLimiterHint : 1
; COMPUTE_PGM_RSRC2:SCRATCH_EN: 0
; COMPUTE_PGM_RSRC2:USER_SGPR: 2
; COMPUTE_PGM_RSRC2:TRAP_HANDLER: 0
; COMPUTE_PGM_RSRC2:TGID_X_EN: 1
; COMPUTE_PGM_RSRC2:TGID_Y_EN: 1
; COMPUTE_PGM_RSRC2:TGID_Z_EN: 0
; COMPUTE_PGM_RSRC2:TIDIG_COMP_CNT: 1
; COMPUTE_PGM_RSRC3_GFX90A:ACCUM_OFFSET: 11
; COMPUTE_PGM_RSRC3_GFX90A:TG_SPLIT: 0
	.section	.text._ZN9rocsparseL30bellmm_general_blockdim_kernelILi32ELi32EflfffEEv20rocsparse_operation_S1_20rocsparse_direction_T2_S3_NS_24const_host_device_scalarIT1_EES3_S3_PKS3_PKT3_PKT4_l16rocsparse_order_S6_PT5_lSF_21rocsparse_index_base_b,"axG",@progbits,_ZN9rocsparseL30bellmm_general_blockdim_kernelILi32ELi32EflfffEEv20rocsparse_operation_S1_20rocsparse_direction_T2_S3_NS_24const_host_device_scalarIT1_EES3_S3_PKS3_PKT3_PKT4_l16rocsparse_order_S6_PT5_lSF_21rocsparse_index_base_b,comdat
	.globl	_ZN9rocsparseL30bellmm_general_blockdim_kernelILi32ELi32EflfffEEv20rocsparse_operation_S1_20rocsparse_direction_T2_S3_NS_24const_host_device_scalarIT1_EES3_S3_PKS3_PKT3_PKT4_l16rocsparse_order_S6_PT5_lSF_21rocsparse_index_base_b ; -- Begin function _ZN9rocsparseL30bellmm_general_blockdim_kernelILi32ELi32EflfffEEv20rocsparse_operation_S1_20rocsparse_direction_T2_S3_NS_24const_host_device_scalarIT1_EES3_S3_PKS3_PKT3_PKT4_l16rocsparse_order_S6_PT5_lSF_21rocsparse_index_base_b
	.p2align	8
	.type	_ZN9rocsparseL30bellmm_general_blockdim_kernelILi32ELi32EflfffEEv20rocsparse_operation_S1_20rocsparse_direction_T2_S3_NS_24const_host_device_scalarIT1_EES3_S3_PKS3_PKT3_PKT4_l16rocsparse_order_S6_PT5_lSF_21rocsparse_index_base_b,@function
_ZN9rocsparseL30bellmm_general_blockdim_kernelILi32ELi32EflfffEEv20rocsparse_operation_S1_20rocsparse_direction_T2_S3_NS_24const_host_device_scalarIT1_EES3_S3_PKS3_PKT3_PKT4_l16rocsparse_order_S6_PT5_lSF_21rocsparse_index_base_b: ; @_ZN9rocsparseL30bellmm_general_blockdim_kernelILi32ELi32EflfffEEv20rocsparse_operation_S1_20rocsparse_direction_T2_S3_NS_24const_host_device_scalarIT1_EES3_S3_PKS3_PKT3_PKT4_l16rocsparse_order_S6_PT5_lSF_21rocsparse_index_base_b
; %bb.0:
	s_load_dwordx4 s[28:31], s[0:1], 0x78
	s_load_dwordx8 s[8:15], s[0:1], 0x10
	s_load_dwordx2 s[34:35], s[0:1], 0x60
	s_mov_b32 s6, s3
	s_waitcnt lgkmcnt(0)
	s_bitcmp1_b32 s30, 0
	s_cselect_b64 s[16:17], -1, 0
	s_xor_b64 s[4:5], s[16:17], -1
	s_and_b64 vcc, exec, s[16:17]
	s_cbranch_vccnz .LBB3_2
; %bb.1:
	s_load_dword s12, s[12:13], 0x0
.LBB3_2:
	s_andn2_b64 vcc, exec, s[4:5]
	s_cbranch_vccnz .LBB3_4
; %bb.3:
	s_load_dword s34, s[34:35], 0x0
.LBB3_4:
	s_waitcnt lgkmcnt(0)
	v_cmp_eq_f32_e64 s[4:5], s12, 0
	v_cmp_eq_f32_e64 s[16:17], s34, 1.0
	s_and_b64 s[4:5], s[4:5], s[16:17]
	s_mov_b32 s3, 0
	s_and_b64 vcc, exec, s[4:5]
	s_cbranch_vccnz .LBB3_44
; %bb.5:
	s_load_dwordx2 s[30:31], s[0:1], 0x30
	v_mov_b64_e32 v[2:3], s[2:3]
	v_cmp_le_i64_e32 vcc, s[8:9], v[2:3]
	v_cmp_gt_i64_e64 s[4:5], s[8:9], v[2:3]
	s_mov_b64 s[36:37], 0
	s_cbranch_vccnz .LBB3_9
; %bb.6:
	s_waitcnt lgkmcnt(0)
	s_or_b64 s[16:17], s[14:15], s[30:31]
	s_mov_b32 s16, 0
	s_cmp_lg_u64 s[16:17], 0
	s_cbranch_scc0 .LBB3_45
; %bb.7:
	s_ashr_i32 s16, s31, 31
	s_add_u32 s18, s30, s16
	s_mov_b32 s17, s16
	s_addc_u32 s19, s31, s16
	s_xor_b64 s[20:21], s[18:19], s[16:17]
	v_cvt_f32_u32_e32 v1, s20
	v_cvt_f32_u32_e32 v2, s21
	s_sub_u32 s3, 0, s20
	s_subb_u32 s7, 0, s21
	v_fmamk_f32 v1, v2, 0x4f800000, v1
	v_rcp_f32_e32 v1, v1
	s_nop 0
	v_mul_f32_e32 v1, 0x5f7ffffc, v1
	v_mul_f32_e32 v2, 0x2f800000, v1
	v_trunc_f32_e32 v2, v2
	v_fmamk_f32 v1, v2, 0xcf800000, v1
	v_cvt_u32_f32_e32 v2, v2
	v_cvt_u32_f32_e32 v1, v1
	v_readfirstlane_b32 s13, v2
	v_readfirstlane_b32 s22, v1
	s_mul_i32 s23, s3, s13
	s_mul_hi_u32 s25, s3, s22
	s_mul_i32 s24, s7, s22
	s_add_i32 s23, s25, s23
	s_add_i32 s23, s23, s24
	s_mul_i32 s26, s3, s22
	s_mul_i32 s25, s22, s23
	s_mul_hi_u32 s27, s22, s26
	s_mul_hi_u32 s24, s22, s23
	s_add_u32 s25, s27, s25
	s_addc_u32 s24, 0, s24
	s_mul_hi_u32 s33, s13, s26
	s_mul_i32 s26, s13, s26
	s_add_u32 s25, s25, s26
	s_mul_hi_u32 s27, s13, s23
	s_addc_u32 s24, s24, s33
	s_addc_u32 s25, s27, 0
	s_mul_i32 s23, s13, s23
	s_add_u32 s23, s24, s23
	s_addc_u32 s24, 0, s25
	s_add_u32 s25, s22, s23
	s_cselect_b64 s[22:23], -1, 0
	s_cmp_lg_u64 s[22:23], 0
	s_addc_u32 s13, s13, s24
	s_mul_i32 s22, s3, s13
	s_mul_hi_u32 s23, s3, s25
	s_add_i32 s22, s23, s22
	s_mul_i32 s7, s7, s25
	s_add_i32 s22, s22, s7
	s_mul_i32 s3, s3, s25
	s_mul_hi_u32 s23, s13, s3
	s_mul_i32 s24, s13, s3
	s_mul_i32 s27, s25, s22
	s_mul_hi_u32 s3, s25, s3
	s_mul_hi_u32 s26, s25, s22
	s_add_u32 s3, s3, s27
	s_addc_u32 s26, 0, s26
	s_add_u32 s3, s3, s24
	s_mul_hi_u32 s7, s13, s22
	s_addc_u32 s3, s26, s23
	s_addc_u32 s7, s7, 0
	s_mul_i32 s22, s13, s22
	s_add_u32 s3, s3, s22
	s_addc_u32 s7, 0, s7
	s_add_u32 s3, s25, s3
	s_cselect_b64 s[22:23], -1, 0
	s_cmp_lg_u64 s[22:23], 0
	s_addc_u32 s7, s13, s7
	s_ashr_i32 s22, s15, 31
	s_add_u32 s24, s14, s22
	s_mov_b32 s23, s22
	s_addc_u32 s25, s15, s22
	s_xor_b64 s[24:25], s[24:25], s[22:23]
	s_mul_i32 s15, s24, s7
	s_mul_hi_u32 s26, s24, s3
	s_mul_hi_u32 s13, s24, s7
	s_add_u32 s15, s26, s15
	s_addc_u32 s13, 0, s13
	s_mul_hi_u32 s27, s25, s3
	s_mul_i32 s3, s25, s3
	s_add_u32 s3, s15, s3
	s_mul_hi_u32 s26, s25, s7
	s_addc_u32 s3, s13, s27
	s_addc_u32 s13, s26, 0
	s_mul_i32 s7, s25, s7
	s_add_u32 s3, s3, s7
	s_addc_u32 s7, 0, s13
	s_mul_i32 s13, s20, s7
	s_mul_hi_u32 s15, s20, s3
	s_add_i32 s13, s15, s13
	s_mul_i32 s15, s21, s3
	s_add_i32 s13, s13, s15
	s_sub_i32 s15, s25, s13
	s_mul_i32 s26, s20, s3
	s_sub_u32 s24, s24, s26
	s_cselect_b64 s[26:27], -1, 0
	s_cmp_lg_u64 s[26:27], 0
	s_subb_u32 s15, s15, s21
	s_sub_u32 s33, s24, s20
	s_cselect_b64 s[36:37], -1, 0
	s_cmp_lg_u64 s[36:37], 0
	s_subb_u32 s15, s15, 0
	s_cmp_ge_u32 s15, s21
	s_cselect_b32 s35, -1, 0
	s_cmp_ge_u32 s33, s20
	s_cselect_b32 s33, -1, 0
	s_cmp_eq_u32 s15, s21
	s_cselect_b32 s15, s33, s35
	s_add_u32 s33, s3, 1
	s_addc_u32 s35, s7, 0
	s_add_u32 s36, s3, 2
	s_addc_u32 s37, s7, 0
	s_cmp_lg_u32 s15, 0
	s_cselect_b32 s15, s36, s33
	s_cselect_b32 s33, s37, s35
	s_cmp_lg_u64 s[26:27], 0
	s_subb_u32 s13, s25, s13
	s_cmp_ge_u32 s13, s21
	s_cselect_b32 s25, -1, 0
	s_cmp_ge_u32 s24, s20
	s_cselect_b32 s20, -1, 0
	s_cmp_eq_u32 s13, s21
	s_cselect_b32 s13, s20, s25
	s_cmp_lg_u32 s13, 0
	s_cselect_b32 s21, s33, s7
	s_cselect_b32 s20, s15, s3
	s_xor_b64 s[16:17], s[22:23], s[16:17]
	s_xor_b64 s[20:21], s[20:21], s[16:17]
	s_sub_u32 s36, s20, s16
	s_subb_u32 s37, s21, s17
	s_cbranch_execnz .LBB3_9
.LBB3_8:
	v_cvt_f32_u32_e32 v1, s30
	s_sub_i32 s3, 0, s30
	s_mov_b32 s37, 0
	v_rcp_iflag_f32_e32 v1, v1
	s_nop 0
	v_mul_f32_e32 v1, 0x4f7ffffe, v1
	v_cvt_u32_f32_e32 v1, v1
	s_nop 0
	v_readfirstlane_b32 s7, v1
	s_mul_i32 s3, s3, s7
	s_mul_hi_u32 s3, s7, s3
	s_add_i32 s7, s7, s3
	s_mul_hi_u32 s3, s14, s7
	s_mul_i32 s13, s3, s30
	s_sub_i32 s13, s14, s13
	s_add_i32 s7, s3, 1
	s_sub_i32 s14, s13, s30
	s_cmp_ge_u32 s13, s30
	s_cselect_b32 s3, s7, s3
	s_cselect_b32 s13, s14, s13
	s_add_i32 s7, s3, 1
	s_cmp_ge_u32 s13, s30
	s_cselect_b32 s36, s7, s3
.LBB3_9:
	s_waitcnt lgkmcnt(0)
	v_cmp_lt_i64_e64 s[14:15], s[30:31], 1
	s_and_b64 vcc, exec, s[14:15]
	s_cbranch_vccnz .LBB3_44
; %bb.10:
	s_mov_b32 s7, 0
	v_bfe_u32 v2, v0, 10, 10
	v_mov_b32_e32 v3, 0
	s_lshl_b32 s6, s6, 5
	v_lshl_add_u64 v[4:5], s[6:7], 0, v[2:3]
	s_load_dwordx2 s[6:7], s[0:1], 0x4
	s_load_dwordx4 s[24:27], s[0:1], 0x68
	s_load_dword s13, s[0:1], 0x58
	s_load_dwordx8 s[16:23], s[0:1], 0x38
	s_mul_i32 s0, s31, s2
	s_mul_hi_u32 s1, s30, s2
	s_add_i32 s15, s1, s0
	s_waitcnt lgkmcnt(0)
	s_cmpk_eq_i32 s6, 0x6f
	s_cselect_b64 s[44:45], -1, 0
	s_cmp_lg_u32 s13, 1
	s_cselect_b64 s[46:47], -1, 0
	s_cmp_lg_u32 s7, 0
	v_cmp_gt_i64_e64 s[0:1], s[10:11], v[4:5]
	s_cselect_b64 s[10:11], -1, 0
	s_cmp_lg_u32 s28, 1
	s_mov_b32 s3, s29
	s_cselect_b64 s[28:29], -1, 0
	v_mul_lo_u32 v7, s27, v4
	v_mul_lo_u32 v10, s26, v5
	v_mad_u64_u32 v[8:9], s[6:7], s26, v4, 0
	s_and_b64 s[40:41], s[4:5], s[0:1]
	s_xor_b64 s[4:5], s[44:45], s[46:47]
	v_and_b32_e32 v0, 0x3ff, v0
	s_mul_i32 s14, s30, s2
	v_add3_u32 v9, v9, v10, v7
	s_xor_b64 s[44:45], s[4:5], -1
	v_mul_lo_u32 v7, s23, v4
	v_mul_lo_u32 v12, s22, v5
	v_mad_u64_u32 v[10:11], s[4:5], s22, v4, 0
	v_lshlrev_b32_e32 v6, 2, v0
	v_add3_u32 v11, v11, v12, v7
	v_mov_b32_e32 v7, v3
	s_lshl_b64 s[4:5], s[14:15], 2
	v_lshl_add_u64 v[12:13], s[4:5], 0, v[6:7]
	v_lshlrev_b32_e32 v16, 2, v2
	v_mov_b32_e32 v17, v3
	v_mul_lo_u32 v14, s30, v13
	v_mul_lo_u32 v15, s31, v12
	v_mad_u64_u32 v[12:13], s[6:7], s30, v12, v[16:17]
	s_mul_i32 s6, s30, s31
	s_mul_hi_u32 s7, s30, s30
	s_add_i32 s7, s7, s6
	s_mul_i32 s13, s30, s30
	v_lshl_add_u64 v[16:17], s[4:5], 0, v[16:17]
	s_add_i32 s6, s7, s6
	s_mul_i32 s7, s13, s9
	s_mul_hi_u32 s33, s13, s8
	v_mul_lo_u32 v19, s30, v17
	v_mul_lo_u32 v20, s31, v16
	v_mad_u64_u32 v[16:17], s[4:5], s30, v16, v[6:7]
	s_add_i32 s7, s33, s7
	s_mul_i32 s6, s6, s8
	v_cmp_gt_i64_e64 s[4:5], s[36:37], 0
	v_or_b32_e32 v18, 0x1000, v6
	v_lshlrev_b32_e32 v32, 7, v2
	v_lshl_add_u64 v[10:11], v[10:11], 2, v[6:7]
	v_add3_u32 v13, v15, v13, v14
	s_add_i32 s7, s7, s6
	s_mul_i32 s6, s13, s8
	v_add3_u32 v17, v20, v17, v19
	v_cndmask_b32_e64 v7, 0, 1, s[4:5]
	v_mov_b32_e32 v1, v3
	s_mov_b64 s[38:39], 0
	v_cmp_neq_f32_e64 s[42:43], s34, 0
	v_lshl_add_u64 v[10:11], s[20:21], 0, v[10:11]
	s_lshl_b64 s[46:47], s[30:31], 2
	v_lshl_add_u64 v[12:13], s[18:19], 0, v[12:13]
	s_lshl_b64 s[48:49], s[30:31], 7
	s_lshl_b64 s[50:51], s[6:7], 2
	v_lshl_add_u64 v[14:15], v[4:5], 2, s[20:21]
	s_lshl_b64 s[20:21], s[22:23], 2
	s_lshl_b64 s[22:23], s[22:23], 7
	v_lshl_add_u64 v[16:17], s[18:19], 0, v[16:17]
	v_cmp_ne_u32_e64 s[4:5], 1, v7
	v_add_u32_e32 v7, v18, v32
	v_add_u32_e32 v33, v6, v32
	s_mov_b64 s[18:19], 0x80
	v_add_u32_e32 v34, 0x400, v6
	v_add_u32_e32 v35, 0x800, v6
	;; [unrolled: 1-line block ×3, first 2 shown]
	s_branch .LBB3_12
.LBB3_11:                               ;   in Loop: Header=BB3_12 Depth=1
	s_or_b64 exec, exec, s[6:7]
	s_add_u32 s38, s38, 32
	s_addc_u32 s39, s39, 0
	v_mov_b64_e32 v[18:19], s[30:31]
	v_cmp_lt_i64_e32 vcc, s[38:39], v[18:19]
	v_lshl_add_u64 v[12:13], v[12:13], 0, s[48:49]
	v_lshl_add_u64 v[16:17], v[16:17], 0, s[18:19]
	s_cbranch_vccz .LBB3_44
.LBB3_12:                               ; =>This Loop Header: Depth=1
                                        ;     Child Loop BB3_15 Depth 2
                                        ;       Child Loop BB3_17 Depth 3
	v_lshl_add_u64 v[18:19], s[38:39], 0, v[0:1]
	s_and_b64 vcc, exec, s[4:5]
	v_cmp_gt_i64_e64 s[6:7], s[30:31], v[18:19]
	v_mov_b32_e32 v37, 0
	s_cbranch_vccnz .LBB3_35
; %bb.13:                               ;   in Loop: Header=BB3_12 Depth=1
	s_mov_b64 s[52:53], 0
	v_mov_b32_e32 v37, 0
	v_mov_b64_e32 v[20:21], v[16:17]
	v_mov_b64_e32 v[22:23], v[12:13]
	s_branch .LBB3_15
.LBB3_14:                               ;   in Loop: Header=BB3_15 Depth=2
	s_add_u32 s52, s52, 1
	s_addc_u32 s53, s53, 0
	v_lshl_add_u64 v[22:23], v[22:23], 0, s[50:51]
	s_cmp_eq_u64 s[52:53], s[36:37]
	v_lshl_add_u64 v[20:21], v[20:21], 0, s[50:51]
	s_cbranch_scc1 .LBB3_35
.LBB3_15:                               ;   Parent Loop BB3_12 Depth=1
                                        ; =>  This Loop Header: Depth=2
                                        ;       Child Loop BB3_17 Depth 3
	s_mul_i32 s13, s52, s9
	s_mul_hi_u32 s33, s52, s8
	s_add_i32 s13, s33, s13
	s_mul_i32 s33, s53, s8
	s_add_i32 s13, s13, s33
	s_mul_i32 s33, s52, s8
	s_add_u32 s54, s33, s2
	s_addc_u32 s55, s13, 0
	s_lshl_b64 s[54:55], s[54:55], 3
	s_add_u32 s54, s16, s54
	s_addc_u32 s55, s17, s55
	s_load_dwordx2 s[54:55], s[54:55], 0x0
	v_mov_b32_e32 v26, s30
	v_mov_b64_e32 v[30:31], v[22:23]
	s_waitcnt lgkmcnt(0)
	s_sub_u32 s54, s54, s3
	s_subb_u32 s55, s55, 0
	s_mul_i32 s13, s47, s54
	s_mul_i32 s33, s46, s55
	v_mov_b32_e32 v24, s54
	s_add_i32 s33, s33, s13
	v_mad_u64_u32 v[24:25], s[56:57], s46, v24, v[10:11]
	v_add_u32_e32 v25, s33, v25
	s_mul_i32 s13, s55, s30
	s_mul_i32 s33, s54, s31
	s_add_i32 s33, s33, s13
	v_mad_u64_u32 v[26:27], s[56:57], s54, v26, v[0:1]
	v_add_u32_e32 v27, s33, v27
	v_mul_lo_u32 v28, s20, v27
	v_mul_lo_u32 v29, s21, v26
	v_mad_u64_u32 v[26:27], s[56:57], s20, v26, v[14:15]
	v_add3_u32 v27, v29, v27, v28
	v_cmp_gt_i64_e64 s[54:55], s[54:55], -1
	v_mov_b64_e32 v[28:29], v[20:21]
	s_mov_b64 s[56:57], 0
	s_branch .LBB3_17
.LBB3_16:                               ;   in Loop: Header=BB3_17 Depth=3
	s_add_u32 s56, s56, 32
	s_addc_u32 s57, s57, 0
	v_mov_b64_e32 v[38:39], s[30:31]
	v_cmp_ge_i64_e32 vcc, s[56:57], v[38:39]
	v_lshl_add_u64 v[24:25], v[24:25], 0, s[18:19]
	v_lshl_add_u64 v[30:31], v[30:31], 0, s[18:19]
	v_lshl_add_u64 v[26:27], v[26:27], 0, s[22:23]
	v_lshl_add_u64 v[28:29], v[28:29], 0, s[48:49]
	s_barrier
	s_cbranch_vccnz .LBB3_14
.LBB3_17:                               ;   Parent Loop BB3_12 Depth=1
                                        ;     Parent Loop BB3_15 Depth=2
                                        ; =>    This Inner Loop Header: Depth=3
	v_lshl_add_u64 v[38:39], v[0:1], 0, s[56:57]
	v_cmp_gt_i64_e32 vcc, s[30:31], v[38:39]
	s_and_b64 s[58:59], s[0:1], vcc
	s_and_b64 s[58:59], s[58:59], s[54:55]
	s_mov_b64 s[60:61], -1
	s_and_b64 vcc, exec, s[44:45]
                                        ; implicit-def: $vgpr38
	s_cbranch_vccz .LBB3_21
; %bb.18:                               ;   in Loop: Header=BB3_17 Depth=3
	v_mov_b32_e32 v38, 0
	s_and_saveexec_b64 s[60:61], s[58:59]
	s_cbranch_execz .LBB3_20
; %bb.19:                               ;   in Loop: Header=BB3_17 Depth=3
	global_load_dword v38, v[26:27], off
.LBB3_20:                               ;   in Loop: Header=BB3_17 Depth=3
	s_or_b64 exec, exec, s[60:61]
	s_mov_b64 s[60:61], 0
.LBB3_21:                               ;   in Loop: Header=BB3_17 Depth=3
	s_andn2_b64 vcc, exec, s[60:61]
	s_cbranch_vccnz .LBB3_25
; %bb.22:                               ;   in Loop: Header=BB3_17 Depth=3
	s_waitcnt vmcnt(0)
	v_mov_b32_e32 v38, 0
	s_and_saveexec_b64 s[60:61], s[58:59]
	s_cbranch_execz .LBB3_24
; %bb.23:                               ;   in Loop: Header=BB3_17 Depth=3
	global_load_dword v38, v[24:25], off
.LBB3_24:                               ;   in Loop: Header=BB3_17 Depth=3
	s_or_b64 exec, exec, s[60:61]
.LBB3_25:                               ;   in Loop: Header=BB3_17 Depth=3
	v_lshl_add_u64 v[40:41], v[2:3], 0, s[56:57]
	v_cmp_gt_i64_e32 vcc, s[30:31], v[40:41]
	s_and_b64 s[58:59], s[6:7], vcc
	s_and_b64 s[58:59], s[58:59], s[54:55]
	s_and_b64 vcc, exec, s[10:11]
	s_waitcnt vmcnt(0)
	ds_write_b32 v7, v38
	s_cbranch_vccz .LBB3_29
; %bb.26:                               ;   in Loop: Header=BB3_17 Depth=3
	v_mov_b32_e32 v38, 0
	s_and_saveexec_b64 s[60:61], s[58:59]
	s_cbranch_execz .LBB3_28
; %bb.27:                               ;   in Loop: Header=BB3_17 Depth=3
	global_load_dword v38, v[28:29], off
.LBB3_28:                               ;   in Loop: Header=BB3_17 Depth=3
	s_or_b64 exec, exec, s[60:61]
	s_cbranch_execz .LBB3_30
	s_branch .LBB3_33
.LBB3_29:                               ;   in Loop: Header=BB3_17 Depth=3
                                        ; implicit-def: $vgpr38
.LBB3_30:                               ;   in Loop: Header=BB3_17 Depth=3
	s_waitcnt vmcnt(0)
	v_mov_b32_e32 v38, 0
	s_and_saveexec_b64 s[60:61], s[58:59]
	s_cbranch_execz .LBB3_32
; %bb.31:                               ;   in Loop: Header=BB3_17 Depth=3
	global_load_dword v38, v[30:31], off
.LBB3_32:                               ;   in Loop: Header=BB3_17 Depth=3
	s_or_b64 exec, exec, s[60:61]
.LBB3_33:                               ;   in Loop: Header=BB3_17 Depth=3
	s_andn2_b64 vcc, exec, s[54:55]
	s_waitcnt vmcnt(0)
	ds_write_b32 v33, v38
	s_waitcnt lgkmcnt(0)
	s_barrier
	s_cbranch_vccnz .LBB3_16
; %bb.34:                               ;   in Loop: Header=BB3_17 Depth=3
	ds_read2_b32 v[54:55], v6 offset1:32
	ds_read_b128 v[38:41], v32 offset:4096
	ds_read_b128 v[42:45], v32 offset:4112
	ds_read2_b32 v[56:57], v6 offset0:64 offset1:96
	ds_read_b128 v[46:49], v32 offset:4128
	ds_read_b128 v[50:53], v32 offset:4144
	ds_read2_b32 v[58:59], v6 offset0:128 offset1:160
	s_waitcnt lgkmcnt(5)
	v_fmac_f32_e32 v37, v54, v38
	v_fmac_f32_e32 v37, v55, v39
	ds_read2_b32 v[38:39], v6 offset0:192 offset1:224
	s_waitcnt lgkmcnt(4)
	v_fmac_f32_e32 v37, v56, v40
	v_fmac_f32_e32 v37, v57, v41
	ds_read2_b32 v[40:41], v34 offset1:32
	s_waitcnt lgkmcnt(2)
	v_fmac_f32_e32 v37, v58, v42
	v_fmac_f32_e32 v37, v59, v43
	ds_read2_b32 v[42:43], v34 offset0:64 offset1:96
	s_waitcnt lgkmcnt(2)
	v_fmac_f32_e32 v37, v38, v44
	v_fmac_f32_e32 v37, v39, v45
	s_waitcnt lgkmcnt(1)
	v_fmac_f32_e32 v37, v40, v46
	ds_read2_b32 v[38:39], v34 offset0:128 offset1:160
	v_fmac_f32_e32 v37, v41, v47
	s_waitcnt lgkmcnt(1)
	v_fmac_f32_e32 v37, v42, v48
	v_fmac_f32_e32 v37, v43, v49
	ds_read2_b32 v[42:43], v34 offset0:192 offset1:224
	s_waitcnt lgkmcnt(1)
	v_fmac_f32_e32 v37, v38, v50
	v_fmac_f32_e32 v37, v39, v51
	ds_read2_b32 v[46:47], v35 offset1:32
	ds_read_b128 v[38:41], v32 offset:4160
	s_waitcnt lgkmcnt(2)
	v_fmac_f32_e32 v37, v42, v52
	v_fmac_f32_e32 v37, v43, v53
	ds_read2_b32 v[48:49], v35 offset0:64 offset1:96
	ds_read_b128 v[42:45], v32 offset:4176
	ds_read2_b32 v[50:51], v35 offset0:128 offset1:160
	s_waitcnt lgkmcnt(3)
	v_fmac_f32_e32 v37, v46, v38
	v_fmac_f32_e32 v37, v47, v39
	ds_read2_b32 v[46:47], v35 offset0:192 offset1:224
	s_waitcnt lgkmcnt(3)
	v_fmac_f32_e32 v37, v48, v40
	v_fmac_f32_e32 v37, v49, v41
	s_waitcnt lgkmcnt(1)
	v_fmac_f32_e32 v37, v50, v42
	ds_read2_b32 v[48:49], v36 offset1:32
	ds_read_b128 v[38:41], v32 offset:4192
	v_fmac_f32_e32 v37, v51, v43
	s_waitcnt lgkmcnt(2)
	v_fmac_f32_e32 v37, v46, v44
	v_fmac_f32_e32 v37, v47, v45
	ds_read2_b32 v[46:47], v36 offset0:64 offset1:96
	ds_read_b128 v[42:45], v32 offset:4208
	ds_read2_b32 v[50:51], v36 offset0:128 offset1:160
	s_waitcnt lgkmcnt(3)
	v_fmac_f32_e32 v37, v48, v38
	v_fmac_f32_e32 v37, v49, v39
	ds_read2_b32 v[38:39], v36 offset0:192 offset1:224
	s_waitcnt lgkmcnt(3)
	v_fmac_f32_e32 v37, v46, v40
	v_fmac_f32_e32 v37, v47, v41
	s_waitcnt lgkmcnt(1)
	v_fmac_f32_e32 v37, v50, v42
	v_fmac_f32_e32 v37, v51, v43
	;; [unrolled: 3-line block ×3, first 2 shown]
	s_branch .LBB3_16
.LBB3_35:                               ;   in Loop: Header=BB3_12 Depth=1
	v_lshl_add_u64 v[22:23], v[18:19], 0, s[14:15]
	s_mov_b64 s[6:7], -1
	s_and_b64 vcc, exec, s[28:29]
                                        ; implicit-def: $vgpr20_vgpr21
	s_cbranch_vccnz .LBB3_38
; %bb.36:                               ;   in Loop: Header=BB3_12 Depth=1
	s_andn2_b64 vcc, exec, s[6:7]
	s_cbranch_vccz .LBB3_39
.LBB3_37:                               ;   in Loop: Header=BB3_12 Depth=1
	v_cmp_gt_i64_e32 vcc, s[30:31], v[18:19]
	s_and_b64 s[52:53], s[40:41], vcc
	s_and_saveexec_b64 s[6:7], s[52:53]
	s_cbranch_execz .LBB3_11
	s_branch .LBB3_40
.LBB3_38:                               ;   in Loop: Header=BB3_12 Depth=1
	v_mad_u64_u32 v[20:21], s[6:7], v22, s26, v[4:5]
	v_mul_lo_u32 v24, v22, s27
	v_mul_lo_u32 v25, v23, s26
	v_add3_u32 v21, v25, v21, v24
	s_cbranch_execnz .LBB3_37
.LBB3_39:                               ;   in Loop: Header=BB3_12 Depth=1
	v_lshl_add_u64 v[20:21], v[22:23], 0, v[8:9]
	v_cmp_gt_i64_e32 vcc, s[30:31], v[18:19]
	s_and_b64 s[52:53], s[40:41], vcc
	s_and_saveexec_b64 s[6:7], s[52:53]
	s_cbranch_execz .LBB3_11
.LBB3_40:                               ;   in Loop: Header=BB3_12 Depth=1
	s_and_b64 vcc, exec, s[42:43]
	v_mul_f32_e32 v22, s12, v37
	v_lshl_add_u64 v[18:19], v[20:21], 2, s[24:25]
	s_cbranch_vccz .LBB3_42
; %bb.41:                               ;   in Loop: Header=BB3_12 Depth=1
	global_load_dword v20, v[18:19], off
	s_waitcnt vmcnt(0)
	v_fma_f32 v20, s34, v20, v22
	global_store_dword v[18:19], v20, off
	s_cbranch_execnz .LBB3_11
	s_branch .LBB3_43
.LBB3_42:                               ;   in Loop: Header=BB3_12 Depth=1
.LBB3_43:                               ;   in Loop: Header=BB3_12 Depth=1
	global_store_dword v[18:19], v22, off
	s_branch .LBB3_11
.LBB3_44:
	s_endpgm
.LBB3_45:
                                        ; implicit-def: $sgpr36_sgpr37
	s_branch .LBB3_8
	.section	.rodata,"a",@progbits
	.p2align	6, 0x0
	.amdhsa_kernel _ZN9rocsparseL30bellmm_general_blockdim_kernelILi32ELi32EflfffEEv20rocsparse_operation_S1_20rocsparse_direction_T2_S3_NS_24const_host_device_scalarIT1_EES3_S3_PKS3_PKT3_PKT4_l16rocsparse_order_S6_PT5_lSF_21rocsparse_index_base_b
		.amdhsa_group_segment_fixed_size 8192
		.amdhsa_private_segment_fixed_size 0
		.amdhsa_kernarg_size 132
		.amdhsa_user_sgpr_count 2
		.amdhsa_user_sgpr_dispatch_ptr 0
		.amdhsa_user_sgpr_queue_ptr 0
		.amdhsa_user_sgpr_kernarg_segment_ptr 1
		.amdhsa_user_sgpr_dispatch_id 0
		.amdhsa_user_sgpr_kernarg_preload_length 0
		.amdhsa_user_sgpr_kernarg_preload_offset 0
		.amdhsa_user_sgpr_private_segment_size 0
		.amdhsa_uses_dynamic_stack 0
		.amdhsa_enable_private_segment 0
		.amdhsa_system_sgpr_workgroup_id_x 1
		.amdhsa_system_sgpr_workgroup_id_y 1
		.amdhsa_system_sgpr_workgroup_id_z 0
		.amdhsa_system_sgpr_workgroup_info 0
		.amdhsa_system_vgpr_workitem_id 1
		.amdhsa_next_free_vgpr 60
		.amdhsa_next_free_sgpr 62
		.amdhsa_accum_offset 60
		.amdhsa_reserve_vcc 1
		.amdhsa_float_round_mode_32 0
		.amdhsa_float_round_mode_16_64 0
		.amdhsa_float_denorm_mode_32 3
		.amdhsa_float_denorm_mode_16_64 3
		.amdhsa_dx10_clamp 1
		.amdhsa_ieee_mode 1
		.amdhsa_fp16_overflow 0
		.amdhsa_tg_split 0
		.amdhsa_exception_fp_ieee_invalid_op 0
		.amdhsa_exception_fp_denorm_src 0
		.amdhsa_exception_fp_ieee_div_zero 0
		.amdhsa_exception_fp_ieee_overflow 0
		.amdhsa_exception_fp_ieee_underflow 0
		.amdhsa_exception_fp_ieee_inexact 0
		.amdhsa_exception_int_div_zero 0
	.end_amdhsa_kernel
	.section	.text._ZN9rocsparseL30bellmm_general_blockdim_kernelILi32ELi32EflfffEEv20rocsparse_operation_S1_20rocsparse_direction_T2_S3_NS_24const_host_device_scalarIT1_EES3_S3_PKS3_PKT3_PKT4_l16rocsparse_order_S6_PT5_lSF_21rocsparse_index_base_b,"axG",@progbits,_ZN9rocsparseL30bellmm_general_blockdim_kernelILi32ELi32EflfffEEv20rocsparse_operation_S1_20rocsparse_direction_T2_S3_NS_24const_host_device_scalarIT1_EES3_S3_PKS3_PKT3_PKT4_l16rocsparse_order_S6_PT5_lSF_21rocsparse_index_base_b,comdat
.Lfunc_end3:
	.size	_ZN9rocsparseL30bellmm_general_blockdim_kernelILi32ELi32EflfffEEv20rocsparse_operation_S1_20rocsparse_direction_T2_S3_NS_24const_host_device_scalarIT1_EES3_S3_PKS3_PKT3_PKT4_l16rocsparse_order_S6_PT5_lSF_21rocsparse_index_base_b, .Lfunc_end3-_ZN9rocsparseL30bellmm_general_blockdim_kernelILi32ELi32EflfffEEv20rocsparse_operation_S1_20rocsparse_direction_T2_S3_NS_24const_host_device_scalarIT1_EES3_S3_PKS3_PKT3_PKT4_l16rocsparse_order_S6_PT5_lSF_21rocsparse_index_base_b
                                        ; -- End function
	.set _ZN9rocsparseL30bellmm_general_blockdim_kernelILi32ELi32EflfffEEv20rocsparse_operation_S1_20rocsparse_direction_T2_S3_NS_24const_host_device_scalarIT1_EES3_S3_PKS3_PKT3_PKT4_l16rocsparse_order_S6_PT5_lSF_21rocsparse_index_base_b.num_vgpr, 60
	.set _ZN9rocsparseL30bellmm_general_blockdim_kernelILi32ELi32EflfffEEv20rocsparse_operation_S1_20rocsparse_direction_T2_S3_NS_24const_host_device_scalarIT1_EES3_S3_PKS3_PKT3_PKT4_l16rocsparse_order_S6_PT5_lSF_21rocsparse_index_base_b.num_agpr, 0
	.set _ZN9rocsparseL30bellmm_general_blockdim_kernelILi32ELi32EflfffEEv20rocsparse_operation_S1_20rocsparse_direction_T2_S3_NS_24const_host_device_scalarIT1_EES3_S3_PKS3_PKT3_PKT4_l16rocsparse_order_S6_PT5_lSF_21rocsparse_index_base_b.numbered_sgpr, 62
	.set _ZN9rocsparseL30bellmm_general_blockdim_kernelILi32ELi32EflfffEEv20rocsparse_operation_S1_20rocsparse_direction_T2_S3_NS_24const_host_device_scalarIT1_EES3_S3_PKS3_PKT3_PKT4_l16rocsparse_order_S6_PT5_lSF_21rocsparse_index_base_b.num_named_barrier, 0
	.set _ZN9rocsparseL30bellmm_general_blockdim_kernelILi32ELi32EflfffEEv20rocsparse_operation_S1_20rocsparse_direction_T2_S3_NS_24const_host_device_scalarIT1_EES3_S3_PKS3_PKT3_PKT4_l16rocsparse_order_S6_PT5_lSF_21rocsparse_index_base_b.private_seg_size, 0
	.set _ZN9rocsparseL30bellmm_general_blockdim_kernelILi32ELi32EflfffEEv20rocsparse_operation_S1_20rocsparse_direction_T2_S3_NS_24const_host_device_scalarIT1_EES3_S3_PKS3_PKT3_PKT4_l16rocsparse_order_S6_PT5_lSF_21rocsparse_index_base_b.uses_vcc, 1
	.set _ZN9rocsparseL30bellmm_general_blockdim_kernelILi32ELi32EflfffEEv20rocsparse_operation_S1_20rocsparse_direction_T2_S3_NS_24const_host_device_scalarIT1_EES3_S3_PKS3_PKT3_PKT4_l16rocsparse_order_S6_PT5_lSF_21rocsparse_index_base_b.uses_flat_scratch, 0
	.set _ZN9rocsparseL30bellmm_general_blockdim_kernelILi32ELi32EflfffEEv20rocsparse_operation_S1_20rocsparse_direction_T2_S3_NS_24const_host_device_scalarIT1_EES3_S3_PKS3_PKT3_PKT4_l16rocsparse_order_S6_PT5_lSF_21rocsparse_index_base_b.has_dyn_sized_stack, 0
	.set _ZN9rocsparseL30bellmm_general_blockdim_kernelILi32ELi32EflfffEEv20rocsparse_operation_S1_20rocsparse_direction_T2_S3_NS_24const_host_device_scalarIT1_EES3_S3_PKS3_PKT3_PKT4_l16rocsparse_order_S6_PT5_lSF_21rocsparse_index_base_b.has_recursion, 0
	.set _ZN9rocsparseL30bellmm_general_blockdim_kernelILi32ELi32EflfffEEv20rocsparse_operation_S1_20rocsparse_direction_T2_S3_NS_24const_host_device_scalarIT1_EES3_S3_PKS3_PKT3_PKT4_l16rocsparse_order_S6_PT5_lSF_21rocsparse_index_base_b.has_indirect_call, 0
	.section	.AMDGPU.csdata,"",@progbits
; Kernel info:
; codeLenInByte = 2476
; TotalNumSgprs: 68
; NumVgprs: 60
; NumAgprs: 0
; TotalNumVgprs: 60
; ScratchSize: 0
; MemoryBound: 0
; FloatMode: 240
; IeeeMode: 1
; LDSByteSize: 8192 bytes/workgroup (compile time only)
; SGPRBlocks: 8
; VGPRBlocks: 7
; NumSGPRsForWavesPerEU: 68
; NumVGPRsForWavesPerEU: 60
; AccumOffset: 60
; Occupancy: 8
; WaveLimiterHint : 1
; COMPUTE_PGM_RSRC2:SCRATCH_EN: 0
; COMPUTE_PGM_RSRC2:USER_SGPR: 2
; COMPUTE_PGM_RSRC2:TRAP_HANDLER: 0
; COMPUTE_PGM_RSRC2:TGID_X_EN: 1
; COMPUTE_PGM_RSRC2:TGID_Y_EN: 1
; COMPUTE_PGM_RSRC2:TGID_Z_EN: 0
; COMPUTE_PGM_RSRC2:TIDIG_COMP_CNT: 1
; COMPUTE_PGM_RSRC3_GFX90A:ACCUM_OFFSET: 14
; COMPUTE_PGM_RSRC3_GFX90A:TG_SPLIT: 0
	.section	.text._ZN9rocsparseL30bellmm_general_blockdim_kernelILi32ELi32EdidddEEv20rocsparse_operation_S1_20rocsparse_direction_T2_S3_NS_24const_host_device_scalarIT1_EES3_S3_PKS3_PKT3_PKT4_l16rocsparse_order_S6_PT5_lSF_21rocsparse_index_base_b,"axG",@progbits,_ZN9rocsparseL30bellmm_general_blockdim_kernelILi32ELi32EdidddEEv20rocsparse_operation_S1_20rocsparse_direction_T2_S3_NS_24const_host_device_scalarIT1_EES3_S3_PKS3_PKT3_PKT4_l16rocsparse_order_S6_PT5_lSF_21rocsparse_index_base_b,comdat
	.globl	_ZN9rocsparseL30bellmm_general_blockdim_kernelILi32ELi32EdidddEEv20rocsparse_operation_S1_20rocsparse_direction_T2_S3_NS_24const_host_device_scalarIT1_EES3_S3_PKS3_PKT3_PKT4_l16rocsparse_order_S6_PT5_lSF_21rocsparse_index_base_b ; -- Begin function _ZN9rocsparseL30bellmm_general_blockdim_kernelILi32ELi32EdidddEEv20rocsparse_operation_S1_20rocsparse_direction_T2_S3_NS_24const_host_device_scalarIT1_EES3_S3_PKS3_PKT3_PKT4_l16rocsparse_order_S6_PT5_lSF_21rocsparse_index_base_b
	.p2align	8
	.type	_ZN9rocsparseL30bellmm_general_blockdim_kernelILi32ELi32EdidddEEv20rocsparse_operation_S1_20rocsparse_direction_T2_S3_NS_24const_host_device_scalarIT1_EES3_S3_PKS3_PKT3_PKT4_l16rocsparse_order_S6_PT5_lSF_21rocsparse_index_base_b,@function
_ZN9rocsparseL30bellmm_general_blockdim_kernelILi32ELi32EdidddEEv20rocsparse_operation_S1_20rocsparse_direction_T2_S3_NS_24const_host_device_scalarIT1_EES3_S3_PKS3_PKT3_PKT4_l16rocsparse_order_S6_PT5_lSF_21rocsparse_index_base_b: ; @_ZN9rocsparseL30bellmm_general_blockdim_kernelILi32ELi32EdidddEEv20rocsparse_operation_S1_20rocsparse_direction_T2_S3_NS_24const_host_device_scalarIT1_EES3_S3_PKS3_PKT3_PKT4_l16rocsparse_order_S6_PT5_lSF_21rocsparse_index_base_b
; %bb.0:
	s_load_dwordx4 s[20:23], s[0:1], 0x68
	s_load_dwordx2 s[8:9], s[0:1], 0x18
	s_load_dwordx2 s[4:5], s[0:1], 0x50
	s_waitcnt lgkmcnt(0)
	s_bitcmp1_b32 s22, 0
	s_cselect_b64 s[10:11], -1, 0
	s_xor_b64 s[6:7], s[10:11], -1
	s_and_b64 vcc, exec, s[10:11]
	v_mov_b64_e32 v[2:3], s[8:9]
	s_cbranch_vccnz .LBB4_2
; %bb.1:
	v_mov_b64_e32 v[2:3], s[8:9]
	flat_load_dwordx2 v[2:3], v[2:3]
.LBB4_2:
	s_andn2_b64 vcc, exec, s[6:7]
	v_mov_b64_e32 v[4:5], s[4:5]
	s_cbranch_vccnz .LBB4_4
; %bb.3:
	v_mov_b64_e32 v[4:5], s[4:5]
	flat_load_dwordx2 v[4:5], v[4:5]
.LBB4_4:
	s_waitcnt vmcnt(0) lgkmcnt(0)
	v_cmp_neq_f64_e32 vcc, 0, v[2:3]
	v_cmp_neq_f64_e64 s[4:5], 1.0, v[4:5]
	s_or_b64 s[4:5], vcc, s[4:5]
	s_and_saveexec_b64 s[6:7], s[4:5]
	s_cbranch_execz .LBB4_45
; %bb.5:
	s_load_dwordx4 s[24:27], s[0:1], 0x4
	s_load_dwordx2 s[22:23], s[0:1], 0x20
	s_mov_b32 s33, 0
	s_waitcnt lgkmcnt(0)
	s_cmp_lt_i32 s2, s26
	s_cselect_b64 s[4:5], -1, 0
	s_cmp_ge_i32 s2, s26
	s_cbranch_scc1 .LBB4_7
; %bb.6:
	s_abs_i32 s6, s23
	v_cvt_f32_u32_e32 v1, s6
	s_sub_i32 s9, 0, s6
	s_abs_i32 s8, s22
	s_xor_b32 s7, s22, s23
	v_rcp_iflag_f32_e32 v1, v1
	s_ashr_i32 s7, s7, 31
	v_mul_f32_e32 v1, 0x4f7ffffe, v1
	v_cvt_u32_f32_e32 v1, v1
	s_nop 0
	v_readfirstlane_b32 s10, v1
	s_mul_i32 s9, s9, s10
	s_mul_hi_u32 s9, s10, s9
	s_add_i32 s10, s10, s9
	s_mul_hi_u32 s9, s8, s10
	s_mul_i32 s10, s9, s6
	s_sub_i32 s8, s8, s10
	s_add_i32 s11, s9, 1
	s_sub_i32 s10, s8, s6
	s_cmp_ge_u32 s8, s6
	s_cselect_b32 s9, s11, s9
	s_cselect_b32 s8, s10, s8
	s_add_i32 s10, s9, 1
	s_cmp_ge_u32 s8, s6
	s_cselect_b32 s6, s10, s9
	s_xor_b32 s6, s6, s7
	s_sub_i32 s33, s6, s7
.LBB4_7:
	s_cmp_lt_i32 s23, 1
	s_cbranch_scc1 .LBB4_45
; %bb.8:
	s_load_dwordx8 s[12:19], s[0:1], 0x28
	s_load_dwordx4 s[28:31], s[0:1], 0x58
	s_load_dword s10, s[0:1], 0x48
	v_bfe_u32 v20, v0, 10, 10
	v_lshl_add_u32 v6, s3, 5, v20
	s_cmp_gt_i32 s33, 0
	v_ashrrev_i32_e32 v7, 31, v6
	s_cselect_b64 s[6:7], -1, 0
	s_cmpk_eq_i32 s24, 0x6f
	v_and_b32_e32 v21, 0x3ff, v0
	s_waitcnt lgkmcnt(0)
	v_mul_lo_u32 v0, s18, v7
	v_mul_lo_u32 v1, s19, v6
	v_mad_u64_u32 v[8:9], s[0:1], s18, v6, 0
	s_cselect_b64 s[8:9], -1, 0
	s_cmp_lg_u32 s10, 1
	v_add3_u32 v9, v9, v0, v1
	s_mul_i32 s3, s23, s2
	s_cselect_b64 s[36:37], -1, 0
	s_cmp_lg_u32 s25, 0
	v_mul_lo_u32 v13, s30, v7
	v_mul_lo_u32 v14, s31, v6
	v_mad_u64_u32 v[10:11], s[10:11], s30, v6, 0
	v_lshl_add_u64 v[0:1], v[6:7], 3, s[16:17]
	v_lshlrev_b32_e32 v22, 3, v21
	v_cmp_gt_i32_e64 s[0:1], s27, v6
	v_lshl_add_u64 v[8:9], v[8:9], 3, s[16:17]
	s_cselect_b64 s[16:17], -1, 0
	s_cmp_lg_u32 s20, 1
	v_add3_u32 v11, v11, v13, v14
	v_add_u32_e32 v13, s3, v20
	v_or_b32_e32 v12, 0x2000, v22
	v_lshlrev_b32_e32 v23, 8, v20
	s_cselect_b64 s[24:25], -1, 0
	s_and_b64 s[34:35], s[4:5], s[0:1]
	s_xor_b64 s[4:5], s[8:9], s[36:37]
	v_mul_lo_u32 v24, s23, v13
	s_mul_i32 s20, s23, s23
	v_cndmask_b32_e64 v13, 0, 1, s[6:7]
	s_mov_b32 s22, 0
	v_cmp_neq_f64_e64 s[10:11], 0, v[4:5]
	s_xor_b64 s[36:37], s[4:5], -1
	s_mul_i32 s20, s20, s26
	s_lshl_b32 s27, s23, 5
	v_cmp_ne_u32_e64 s[4:5], 1, v13
	v_mov_b32_e32 v13, 0
	v_add_u32_e32 v25, v12, v23
	v_add_u32_e32 v26, v22, v23
	;; [unrolled: 1-line block ×5, first 2 shown]
	s_branch .LBB4_10
.LBB4_9:                                ;   in Loop: Header=BB4_10 Depth=1
	s_or_b64 exec, exec, s[6:7]
	s_add_i32 s22, s22, 32
	s_cmp_lt_i32 s22, s23
	v_add_u32_e32 v24, 32, v24
	s_cbranch_scc0 .LBB4_45
.LBB4_10:                               ; =>This Loop Header: Depth=1
                                        ;     Child Loop BB4_13 Depth 2
                                        ;       Child Loop BB4_15 Depth 3
	v_add_u32_e32 v30, s22, v21
	s_and_b64 vcc, exec, s[4:5]
	v_cmp_gt_i32_e64 s[6:7], s23, v30
	s_cbranch_vccnz .LBB4_35
; %bb.11:                               ;   in Loop: Header=BB4_10 Depth=1
	s_mov_b32 s48, 0
	v_mov_b64_e32 v[14:15], 0
	v_mov_b32_e32 v31, v24
	s_branch .LBB4_13
.LBB4_12:                               ;   in Loop: Header=BB4_13 Depth=2
	s_add_i32 s48, s48, 1
	s_cmp_eq_u32 s48, s33
	v_add_u32_e32 v31, s20, v31
	s_cbranch_scc1 .LBB4_36
.LBB4_13:                               ;   Parent Loop BB4_10 Depth=1
                                        ; =>  This Loop Header: Depth=2
                                        ;       Child Loop BB4_15 Depth 3
	s_mul_i32 s8, s48, s26
	s_add_i32 s8, s8, s2
	s_ashr_i32 s9, s8, 31
	s_lshl_b64 s[38:39], s[8:9], 2
	s_add_u32 s38, s12, s38
	s_addc_u32 s39, s13, s39
	s_load_dword s9, s[38:39], 0x0
	s_mul_i32 s8, s8, s23
	v_add_u32_e32 v12, s8, v30
	v_mul_lo_u32 v32, v12, s23
	v_add_u32_e32 v34, v21, v31
	s_waitcnt lgkmcnt(0)
	s_sub_i32 s8, s9, s21
	s_cmp_gt_i32 s8, -1
	s_cselect_b64 s[38:39], -1, 0
	s_mul_i32 s8, s8, s23
	v_cndmask_b32_e64 v12, 0, 1, s[38:39]
	v_add_u32_e32 v33, s8, v21
	v_cmp_ne_u32_e64 s[8:9], 1, v12
	s_mov_b32 s49, 0
	s_mov_b32 s50, 0
	s_branch .LBB4_15
.LBB4_14:                               ;   in Loop: Header=BB4_15 Depth=3
	s_add_i32 s50, s50, 32
	s_add_i32 s49, s49, s27
	s_cmp_ge_i32 s50, s23
	s_barrier
	s_cbranch_scc1 .LBB4_12
.LBB4_15:                               ;   Parent Loop BB4_10 Depth=1
                                        ;     Parent Loop BB4_13 Depth=2
                                        ; =>    This Inner Loop Header: Depth=3
	v_add_u32_e32 v12, s50, v21
	v_cmp_gt_i32_e32 vcc, s23, v12
	s_and_b64 s[40:41], s[0:1], vcc
	s_and_b64 s[40:41], s[40:41], s[38:39]
	s_mov_b64 s[42:43], -1
	s_and_b64 vcc, exec, s[36:37]
                                        ; implicit-def: $vgpr16_vgpr17
	s_cbranch_vccz .LBB4_19
; %bb.16:                               ;   in Loop: Header=BB4_15 Depth=3
	v_mov_b64_e32 v[16:17], 0
	s_and_saveexec_b64 s[42:43], s[40:41]
	s_cbranch_execz .LBB4_18
; %bb.17:                               ;   in Loop: Header=BB4_15 Depth=3
	v_add_u32_e32 v18, s50, v33
	v_mad_u64_u32 v[16:17], s[44:45], s18, v18, 0
	v_mov_b32_e32 v12, v17
	v_mad_u64_u32 v[18:19], s[44:45], s19, v18, v[12:13]
	v_mov_b32_e32 v17, v18
	v_lshl_add_u64 v[16:17], v[16:17], 3, v[0:1]
	global_load_dwordx2 v[16:17], v[16:17], off
.LBB4_18:                               ;   in Loop: Header=BB4_15 Depth=3
	s_or_b64 exec, exec, s[42:43]
	s_mov_b64 s[42:43], 0
.LBB4_19:                               ;   in Loop: Header=BB4_15 Depth=3
	s_andn2_b64 vcc, exec, s[42:43]
	s_cbranch_vccnz .LBB4_23
; %bb.20:                               ;   in Loop: Header=BB4_15 Depth=3
	s_waitcnt vmcnt(0)
	v_mov_b64_e32 v[16:17], 0
	s_and_saveexec_b64 s[42:43], s[40:41]
	s_cbranch_execz .LBB4_22
; %bb.21:                               ;   in Loop: Header=BB4_15 Depth=3
	v_add_u32_e32 v12, s50, v33
	v_lshl_add_u64 v[16:17], v[12:13], 3, v[8:9]
	global_load_dwordx2 v[16:17], v[16:17], off
.LBB4_22:                               ;   in Loop: Header=BB4_15 Depth=3
	s_or_b64 exec, exec, s[42:43]
.LBB4_23:                               ;   in Loop: Header=BB4_15 Depth=3
	v_add_u32_e32 v12, s50, v20
	v_cmp_gt_i32_e32 vcc, s23, v12
	s_and_b64 s[40:41], s[6:7], vcc
	s_and_b64 s[42:43], s[40:41], s[38:39]
	s_and_b64 vcc, exec, s[16:17]
	s_waitcnt vmcnt(0)
	ds_write_b64 v25, v[16:17]
	s_cbranch_vccz .LBB4_31
; %bb.24:                               ;   in Loop: Header=BB4_15 Depth=3
	s_mov_b64 s[44:45], 0
	s_mov_b64 s[40:41], 0
                                        ; implicit-def: $vgpr16
	s_and_saveexec_b64 s[46:47], s[42:43]
	s_xor_b64 s[46:47], exec, s[46:47]
; %bb.25:                               ;   in Loop: Header=BB4_15 Depth=3
	s_mov_b64 s[40:41], exec
	v_add_u32_e32 v16, s49, v34
; %bb.26:                               ;   in Loop: Header=BB4_15 Depth=3
	s_or_b64 exec, exec, s[46:47]
	s_and_b64 vcc, exec, s[44:45]
	s_cbranch_vccnz .LBB4_32
.LBB4_27:                               ;   in Loop: Header=BB4_15 Depth=3
	v_mov_b64_e32 v[18:19], 0
	s_and_saveexec_b64 s[42:43], s[40:41]
	s_cbranch_execz .LBB4_29
.LBB4_28:                               ;   in Loop: Header=BB4_15 Depth=3
	v_ashrrev_i32_e32 v17, 31, v16
	v_lshl_add_u64 v[16:17], v[16:17], 3, s[14:15]
	global_load_dwordx2 v[18:19], v[16:17], off
.LBB4_29:                               ;   in Loop: Header=BB4_15 Depth=3
	s_or_b64 exec, exec, s[42:43]
	s_and_b64 vcc, exec, s[8:9]
	s_waitcnt vmcnt(0)
	ds_write_b64 v26, v[18:19]
	s_waitcnt lgkmcnt(0)
	s_barrier
	s_cbranch_vccnz .LBB4_14
; %bb.30:                               ;   in Loop: Header=BB4_15 Depth=3
	ds_read2_b64 v[16:19], v22 offset1:32
	ds_read_b128 v[36:39], v23 offset:8192
	ds_read_b128 v[40:43], v23 offset:8208
	ds_read2_b64 v[44:47], v22 offset0:64 offset1:96
	ds_read_b128 v[48:51], v23 offset:8224
	ds_read_b128 v[52:55], v23 offset:8240
	ds_read2_b64 v[56:59], v22 offset0:128 offset1:160
	s_waitcnt lgkmcnt(5)
	v_fmac_f64_e32 v[14:15], v[16:17], v[36:37]
	v_fmac_f64_e32 v[14:15], v[18:19], v[38:39]
	ds_read2_b64 v[16:19], v22 offset0:192 offset1:224
	s_waitcnt lgkmcnt(4)
	v_fmac_f64_e32 v[14:15], v[44:45], v[40:41]
	v_fmac_f64_e32 v[14:15], v[46:47], v[42:43]
	s_waitcnt lgkmcnt(1)
	v_fmac_f64_e32 v[14:15], v[56:57], v[48:49]
	v_fmac_f64_e32 v[14:15], v[58:59], v[50:51]
	ds_read2_b64 v[36:39], v27 offset1:32
	ds_read_b128 v[40:43], v23 offset:8256
	s_waitcnt lgkmcnt(2)
	v_fmac_f64_e32 v[14:15], v[16:17], v[52:53]
	v_fmac_f64_e32 v[14:15], v[18:19], v[54:55]
	ds_read2_b64 v[16:19], v27 offset0:64 offset1:96
	ds_read_b128 v[44:47], v23 offset:8272
	s_waitcnt lgkmcnt(2)
	v_fmac_f64_e32 v[14:15], v[36:37], v[40:41]
	v_fmac_f64_e32 v[14:15], v[38:39], v[42:43]
	ds_read2_b64 v[36:39], v27 offset0:128 offset1:160
	ds_read_b128 v[40:43], v23 offset:8288
	s_waitcnt lgkmcnt(2)
	v_fmac_f64_e32 v[14:15], v[16:17], v[44:45]
	v_fmac_f64_e32 v[14:15], v[18:19], v[46:47]
	ds_read2_b64 v[16:19], v27 offset0:192 offset1:224
	ds_read_b128 v[44:47], v23 offset:8304
	s_waitcnt lgkmcnt(2)
	v_fmac_f64_e32 v[14:15], v[36:37], v[40:41]
	v_fmac_f64_e32 v[14:15], v[38:39], v[42:43]
	ds_read2_b64 v[36:39], v28 offset1:32
	ds_read_b128 v[40:43], v23 offset:8320
	s_waitcnt lgkmcnt(2)
	v_fmac_f64_e32 v[14:15], v[16:17], v[44:45]
	v_fmac_f64_e32 v[14:15], v[18:19], v[46:47]
	ds_read2_b64 v[16:19], v28 offset0:64 offset1:96
	ds_read_b128 v[44:47], v23 offset:8336
	s_waitcnt lgkmcnt(2)
	v_fmac_f64_e32 v[14:15], v[36:37], v[40:41]
	v_fmac_f64_e32 v[14:15], v[38:39], v[42:43]
	ds_read2_b64 v[36:39], v28 offset0:128 offset1:160
	;; [unrolled: 5-line block ×3, first 2 shown]
	ds_read_b128 v[44:47], v23 offset:8368
	ds_read2_b64 v[48:51], v29 offset1:32
	ds_read_b128 v[52:55], v23 offset:8384
	s_waitcnt lgkmcnt(4)
	v_fmac_f64_e32 v[14:15], v[36:37], v[40:41]
	v_fmac_f64_e32 v[14:15], v[38:39], v[42:43]
	s_waitcnt lgkmcnt(2)
	v_fmac_f64_e32 v[14:15], v[16:17], v[44:45]
	v_fmac_f64_e32 v[14:15], v[18:19], v[46:47]
	ds_read_b128 v[16:19], v23 offset:8400
	s_waitcnt lgkmcnt(1)
	v_fmac_f64_e32 v[14:15], v[48:49], v[52:53]
	v_fmac_f64_e32 v[14:15], v[50:51], v[54:55]
	ds_read2_b64 v[36:39], v29 offset0:64 offset1:96
	ds_read2_b64 v[40:43], v29 offset0:128 offset1:160
	ds_read_b128 v[44:47], v23 offset:8416
	ds_read2_b64 v[48:51], v29 offset0:192 offset1:224
	ds_read_b128 v[52:55], v23 offset:8432
	s_waitcnt lgkmcnt(4)
	v_fmac_f64_e32 v[14:15], v[36:37], v[16:17]
	v_fmac_f64_e32 v[14:15], v[38:39], v[18:19]
	s_waitcnt lgkmcnt(2)
	v_fmac_f64_e32 v[14:15], v[40:41], v[44:45]
	v_fmac_f64_e32 v[14:15], v[42:43], v[46:47]
	;; [unrolled: 3-line block ×3, first 2 shown]
	s_branch .LBB4_14
.LBB4_31:                               ;   in Loop: Header=BB4_15 Depth=3
	s_mov_b64 s[40:41], 0
                                        ; implicit-def: $vgpr16
	s_cbranch_execz .LBB4_27
.LBB4_32:                               ;   in Loop: Header=BB4_15 Depth=3
                                        ; implicit-def: $vgpr16
	s_and_saveexec_b64 s[44:45], s[42:43]
; %bb.33:                               ;   in Loop: Header=BB4_15 Depth=3
	v_add_u32_e32 v16, v12, v32
	s_or_b64 s[40:41], s[40:41], exec
; %bb.34:                               ;   in Loop: Header=BB4_15 Depth=3
	s_or_b64 exec, exec, s[44:45]
	v_mov_b64_e32 v[18:19], 0
	s_and_saveexec_b64 s[42:43], s[40:41]
	s_cbranch_execnz .LBB4_28
	s_branch .LBB4_29
.LBB4_35:                               ;   in Loop: Header=BB4_10 Depth=1
	v_mov_b64_e32 v[14:15], 0
.LBB4_36:                               ;   in Loop: Header=BB4_10 Depth=1
	v_add_u32_e32 v18, s3, v30
	v_ashrrev_i32_e32 v19, 31, v18
	s_mov_b64 s[6:7], -1
	s_and_b64 vcc, exec, s[24:25]
                                        ; implicit-def: $vgpr16_vgpr17
	s_cbranch_vccnz .LBB4_39
; %bb.37:                               ;   in Loop: Header=BB4_10 Depth=1
	s_andn2_b64 vcc, exec, s[6:7]
	s_cbranch_vccz .LBB4_40
.LBB4_38:                               ;   in Loop: Header=BB4_10 Depth=1
	v_cmp_gt_i32_e32 vcc, s23, v30
	s_and_b64 s[8:9], s[34:35], vcc
	s_and_saveexec_b64 s[6:7], s[8:9]
	s_cbranch_execz .LBB4_9
	s_branch .LBB4_41
.LBB4_39:                               ;   in Loop: Header=BB4_10 Depth=1
	v_mad_u64_u32 v[16:17], s[6:7], s30, v18, v[6:7]
	v_mul_lo_u32 v12, s30, v19
	v_mul_lo_u32 v31, s31, v18
	v_add3_u32 v17, v31, v17, v12
	s_cbranch_execnz .LBB4_38
.LBB4_40:                               ;   in Loop: Header=BB4_10 Depth=1
	v_lshl_add_u64 v[16:17], v[10:11], 0, v[18:19]
	v_cmp_gt_i32_e32 vcc, s23, v30
	s_and_b64 s[8:9], s[34:35], vcc
	s_and_saveexec_b64 s[6:7], s[8:9]
	s_cbranch_execz .LBB4_9
.LBB4_41:                               ;   in Loop: Header=BB4_10 Depth=1
	v_mul_f64 v[18:19], v[2:3], v[14:15]
	v_lshl_add_u64 v[14:15], v[16:17], 3, s[28:29]
	s_and_saveexec_b64 s[8:9], s[10:11]
	s_xor_b64 s[8:9], exec, s[8:9]
	s_cbranch_execz .LBB4_43
; %bb.42:                               ;   in Loop: Header=BB4_10 Depth=1
	global_load_dwordx2 v[16:17], v[14:15], off
	s_waitcnt vmcnt(0)
	v_fmac_f64_e32 v[18:19], v[4:5], v[16:17]
	global_store_dwordx2 v[14:15], v[18:19], off
                                        ; implicit-def: $vgpr14_vgpr15
                                        ; implicit-def: $vgpr18_vgpr19
.LBB4_43:                               ;   in Loop: Header=BB4_10 Depth=1
	s_andn2_saveexec_b64 s[8:9], s[8:9]
	s_cbranch_execz .LBB4_9
; %bb.44:                               ;   in Loop: Header=BB4_10 Depth=1
	global_store_dwordx2 v[14:15], v[18:19], off
	s_branch .LBB4_9
.LBB4_45:
	s_endpgm
	.section	.rodata,"a",@progbits
	.p2align	6, 0x0
	.amdhsa_kernel _ZN9rocsparseL30bellmm_general_blockdim_kernelILi32ELi32EdidddEEv20rocsparse_operation_S1_20rocsparse_direction_T2_S3_NS_24const_host_device_scalarIT1_EES3_S3_PKS3_PKT3_PKT4_l16rocsparse_order_S6_PT5_lSF_21rocsparse_index_base_b
		.amdhsa_group_segment_fixed_size 16384
		.amdhsa_private_segment_fixed_size 0
		.amdhsa_kernarg_size 116
		.amdhsa_user_sgpr_count 2
		.amdhsa_user_sgpr_dispatch_ptr 0
		.amdhsa_user_sgpr_queue_ptr 0
		.amdhsa_user_sgpr_kernarg_segment_ptr 1
		.amdhsa_user_sgpr_dispatch_id 0
		.amdhsa_user_sgpr_kernarg_preload_length 0
		.amdhsa_user_sgpr_kernarg_preload_offset 0
		.amdhsa_user_sgpr_private_segment_size 0
		.amdhsa_uses_dynamic_stack 0
		.amdhsa_enable_private_segment 0
		.amdhsa_system_sgpr_workgroup_id_x 1
		.amdhsa_system_sgpr_workgroup_id_y 1
		.amdhsa_system_sgpr_workgroup_id_z 0
		.amdhsa_system_sgpr_workgroup_info 0
		.amdhsa_system_vgpr_workitem_id 1
		.amdhsa_next_free_vgpr 60
		.amdhsa_next_free_sgpr 51
		.amdhsa_accum_offset 60
		.amdhsa_reserve_vcc 1
		.amdhsa_float_round_mode_32 0
		.amdhsa_float_round_mode_16_64 0
		.amdhsa_float_denorm_mode_32 3
		.amdhsa_float_denorm_mode_16_64 3
		.amdhsa_dx10_clamp 1
		.amdhsa_ieee_mode 1
		.amdhsa_fp16_overflow 0
		.amdhsa_tg_split 0
		.amdhsa_exception_fp_ieee_invalid_op 0
		.amdhsa_exception_fp_denorm_src 0
		.amdhsa_exception_fp_ieee_div_zero 0
		.amdhsa_exception_fp_ieee_overflow 0
		.amdhsa_exception_fp_ieee_underflow 0
		.amdhsa_exception_fp_ieee_inexact 0
		.amdhsa_exception_int_div_zero 0
	.end_amdhsa_kernel
	.section	.text._ZN9rocsparseL30bellmm_general_blockdim_kernelILi32ELi32EdidddEEv20rocsparse_operation_S1_20rocsparse_direction_T2_S3_NS_24const_host_device_scalarIT1_EES3_S3_PKS3_PKT3_PKT4_l16rocsparse_order_S6_PT5_lSF_21rocsparse_index_base_b,"axG",@progbits,_ZN9rocsparseL30bellmm_general_blockdim_kernelILi32ELi32EdidddEEv20rocsparse_operation_S1_20rocsparse_direction_T2_S3_NS_24const_host_device_scalarIT1_EES3_S3_PKS3_PKT3_PKT4_l16rocsparse_order_S6_PT5_lSF_21rocsparse_index_base_b,comdat
.Lfunc_end4:
	.size	_ZN9rocsparseL30bellmm_general_blockdim_kernelILi32ELi32EdidddEEv20rocsparse_operation_S1_20rocsparse_direction_T2_S3_NS_24const_host_device_scalarIT1_EES3_S3_PKS3_PKT3_PKT4_l16rocsparse_order_S6_PT5_lSF_21rocsparse_index_base_b, .Lfunc_end4-_ZN9rocsparseL30bellmm_general_blockdim_kernelILi32ELi32EdidddEEv20rocsparse_operation_S1_20rocsparse_direction_T2_S3_NS_24const_host_device_scalarIT1_EES3_S3_PKS3_PKT3_PKT4_l16rocsparse_order_S6_PT5_lSF_21rocsparse_index_base_b
                                        ; -- End function
	.set _ZN9rocsparseL30bellmm_general_blockdim_kernelILi32ELi32EdidddEEv20rocsparse_operation_S1_20rocsparse_direction_T2_S3_NS_24const_host_device_scalarIT1_EES3_S3_PKS3_PKT3_PKT4_l16rocsparse_order_S6_PT5_lSF_21rocsparse_index_base_b.num_vgpr, 60
	.set _ZN9rocsparseL30bellmm_general_blockdim_kernelILi32ELi32EdidddEEv20rocsparse_operation_S1_20rocsparse_direction_T2_S3_NS_24const_host_device_scalarIT1_EES3_S3_PKS3_PKT3_PKT4_l16rocsparse_order_S6_PT5_lSF_21rocsparse_index_base_b.num_agpr, 0
	.set _ZN9rocsparseL30bellmm_general_blockdim_kernelILi32ELi32EdidddEEv20rocsparse_operation_S1_20rocsparse_direction_T2_S3_NS_24const_host_device_scalarIT1_EES3_S3_PKS3_PKT3_PKT4_l16rocsparse_order_S6_PT5_lSF_21rocsparse_index_base_b.numbered_sgpr, 51
	.set _ZN9rocsparseL30bellmm_general_blockdim_kernelILi32ELi32EdidddEEv20rocsparse_operation_S1_20rocsparse_direction_T2_S3_NS_24const_host_device_scalarIT1_EES3_S3_PKS3_PKT3_PKT4_l16rocsparse_order_S6_PT5_lSF_21rocsparse_index_base_b.num_named_barrier, 0
	.set _ZN9rocsparseL30bellmm_general_blockdim_kernelILi32ELi32EdidddEEv20rocsparse_operation_S1_20rocsparse_direction_T2_S3_NS_24const_host_device_scalarIT1_EES3_S3_PKS3_PKT3_PKT4_l16rocsparse_order_S6_PT5_lSF_21rocsparse_index_base_b.private_seg_size, 0
	.set _ZN9rocsparseL30bellmm_general_blockdim_kernelILi32ELi32EdidddEEv20rocsparse_operation_S1_20rocsparse_direction_T2_S3_NS_24const_host_device_scalarIT1_EES3_S3_PKS3_PKT3_PKT4_l16rocsparse_order_S6_PT5_lSF_21rocsparse_index_base_b.uses_vcc, 1
	.set _ZN9rocsparseL30bellmm_general_blockdim_kernelILi32ELi32EdidddEEv20rocsparse_operation_S1_20rocsparse_direction_T2_S3_NS_24const_host_device_scalarIT1_EES3_S3_PKS3_PKT3_PKT4_l16rocsparse_order_S6_PT5_lSF_21rocsparse_index_base_b.uses_flat_scratch, 0
	.set _ZN9rocsparseL30bellmm_general_blockdim_kernelILi32ELi32EdidddEEv20rocsparse_operation_S1_20rocsparse_direction_T2_S3_NS_24const_host_device_scalarIT1_EES3_S3_PKS3_PKT3_PKT4_l16rocsparse_order_S6_PT5_lSF_21rocsparse_index_base_b.has_dyn_sized_stack, 0
	.set _ZN9rocsparseL30bellmm_general_blockdim_kernelILi32ELi32EdidddEEv20rocsparse_operation_S1_20rocsparse_direction_T2_S3_NS_24const_host_device_scalarIT1_EES3_S3_PKS3_PKT3_PKT4_l16rocsparse_order_S6_PT5_lSF_21rocsparse_index_base_b.has_recursion, 0
	.set _ZN9rocsparseL30bellmm_general_blockdim_kernelILi32ELi32EdidddEEv20rocsparse_operation_S1_20rocsparse_direction_T2_S3_NS_24const_host_device_scalarIT1_EES3_S3_PKS3_PKT3_PKT4_l16rocsparse_order_S6_PT5_lSF_21rocsparse_index_base_b.has_indirect_call, 0
	.section	.AMDGPU.csdata,"",@progbits
; Kernel info:
; codeLenInByte = 1736
; TotalNumSgprs: 57
; NumVgprs: 60
; NumAgprs: 0
; TotalNumVgprs: 60
; ScratchSize: 0
; MemoryBound: 0
; FloatMode: 240
; IeeeMode: 1
; LDSByteSize: 16384 bytes/workgroup (compile time only)
; SGPRBlocks: 7
; VGPRBlocks: 7
; NumSGPRsForWavesPerEU: 57
; NumVGPRsForWavesPerEU: 60
; AccumOffset: 60
; Occupancy: 8
; WaveLimiterHint : 1
; COMPUTE_PGM_RSRC2:SCRATCH_EN: 0
; COMPUTE_PGM_RSRC2:USER_SGPR: 2
; COMPUTE_PGM_RSRC2:TRAP_HANDLER: 0
; COMPUTE_PGM_RSRC2:TGID_X_EN: 1
; COMPUTE_PGM_RSRC2:TGID_Y_EN: 1
; COMPUTE_PGM_RSRC2:TGID_Z_EN: 0
; COMPUTE_PGM_RSRC2:TIDIG_COMP_CNT: 1
; COMPUTE_PGM_RSRC3_GFX90A:ACCUM_OFFSET: 14
; COMPUTE_PGM_RSRC3_GFX90A:TG_SPLIT: 0
	.section	.text._ZN9rocsparseL30bellmm_general_blockdim_kernelILi32ELi32EdldddEEv20rocsparse_operation_S1_20rocsparse_direction_T2_S3_NS_24const_host_device_scalarIT1_EES3_S3_PKS3_PKT3_PKT4_l16rocsparse_order_S6_PT5_lSF_21rocsparse_index_base_b,"axG",@progbits,_ZN9rocsparseL30bellmm_general_blockdim_kernelILi32ELi32EdldddEEv20rocsparse_operation_S1_20rocsparse_direction_T2_S3_NS_24const_host_device_scalarIT1_EES3_S3_PKS3_PKT3_PKT4_l16rocsparse_order_S6_PT5_lSF_21rocsparse_index_base_b,comdat
	.globl	_ZN9rocsparseL30bellmm_general_blockdim_kernelILi32ELi32EdldddEEv20rocsparse_operation_S1_20rocsparse_direction_T2_S3_NS_24const_host_device_scalarIT1_EES3_S3_PKS3_PKT3_PKT4_l16rocsparse_order_S6_PT5_lSF_21rocsparse_index_base_b ; -- Begin function _ZN9rocsparseL30bellmm_general_blockdim_kernelILi32ELi32EdldddEEv20rocsparse_operation_S1_20rocsparse_direction_T2_S3_NS_24const_host_device_scalarIT1_EES3_S3_PKS3_PKT3_PKT4_l16rocsparse_order_S6_PT5_lSF_21rocsparse_index_base_b
	.p2align	8
	.type	_ZN9rocsparseL30bellmm_general_blockdim_kernelILi32ELi32EdldddEEv20rocsparse_operation_S1_20rocsparse_direction_T2_S3_NS_24const_host_device_scalarIT1_EES3_S3_PKS3_PKT3_PKT4_l16rocsparse_order_S6_PT5_lSF_21rocsparse_index_base_b,@function
_ZN9rocsparseL30bellmm_general_blockdim_kernelILi32ELi32EdldddEEv20rocsparse_operation_S1_20rocsparse_direction_T2_S3_NS_24const_host_device_scalarIT1_EES3_S3_PKS3_PKT3_PKT4_l16rocsparse_order_S6_PT5_lSF_21rocsparse_index_base_b: ; @_ZN9rocsparseL30bellmm_general_blockdim_kernelILi32ELi32EdldddEEv20rocsparse_operation_S1_20rocsparse_direction_T2_S3_NS_24const_host_device_scalarIT1_EES3_S3_PKS3_PKT3_PKT4_l16rocsparse_order_S6_PT5_lSF_21rocsparse_index_base_b
; %bb.0:
	s_load_dwordx4 s[8:11], s[0:1], 0x78
	s_load_dwordx8 s[12:19], s[0:1], 0x10
	s_load_dwordx2 s[4:5], s[0:1], 0x60
	s_mov_b32 s6, s3
	s_waitcnt lgkmcnt(0)
	s_bitcmp1_b32 s10, 0
	s_cselect_b64 s[20:21], -1, 0
	s_xor_b64 s[10:11], s[20:21], -1
	s_and_b64 vcc, exec, s[20:21]
	v_mov_b64_e32 v[2:3], s[16:17]
	s_cbranch_vccnz .LBB5_2
; %bb.1:
	v_mov_b64_e32 v[2:3], s[16:17]
	flat_load_dwordx2 v[2:3], v[2:3]
.LBB5_2:
	s_andn2_b64 vcc, exec, s[10:11]
	v_mov_b64_e32 v[4:5], s[4:5]
	s_cbranch_vccnz .LBB5_4
; %bb.3:
	v_mov_b64_e32 v[4:5], s[4:5]
	flat_load_dwordx2 v[4:5], v[4:5]
.LBB5_4:
	s_waitcnt vmcnt(0) lgkmcnt(0)
	v_cmp_neq_f64_e32 vcc, 0, v[2:3]
	v_cmp_neq_f64_e64 s[4:5], 1.0, v[4:5]
	s_mov_b64 s[28:29], 0
	s_or_b64 s[4:5], vcc, s[4:5]
	s_and_saveexec_b64 s[10:11], s[4:5]
	s_cbranch_execz .LBB5_45
; %bb.5:
	s_load_dwordx2 s[10:11], s[0:1], 0x30
	s_mov_b32 s3, 0
	v_mov_b64_e32 v[6:7], s[2:3]
	v_cmp_le_i64_e32 vcc, s[12:13], v[6:7]
	v_cmp_gt_i64_e64 s[4:5], s[12:13], v[6:7]
	s_cbranch_vccnz .LBB5_9
; %bb.6:
	s_waitcnt lgkmcnt(0)
	s_or_b64 s[16:17], s[18:19], s[10:11]
	s_mov_b32 s16, s3
	s_cmp_lg_u64 s[16:17], 0
	s_cbranch_scc0 .LBB5_46
; %bb.7:
	s_ashr_i32 s16, s11, 31
	s_add_u32 s20, s10, s16
	s_mov_b32 s17, s16
	s_addc_u32 s21, s11, s16
	s_xor_b64 s[22:23], s[20:21], s[16:17]
	v_cvt_f32_u32_e32 v1, s22
	v_cvt_f32_u32_e32 v6, s23
	s_sub_u32 s3, 0, s22
	s_subb_u32 s7, 0, s23
	v_fmamk_f32 v1, v6, 0x4f800000, v1
	v_rcp_f32_e32 v1, v1
	s_nop 0
	v_mul_f32_e32 v1, 0x5f7ffffc, v1
	v_mul_f32_e32 v6, 0x2f800000, v1
	v_trunc_f32_e32 v6, v6
	v_fmamk_f32 v1, v6, 0xcf800000, v1
	v_cvt_u32_f32_e32 v6, v6
	v_cvt_u32_f32_e32 v1, v1
	v_readfirstlane_b32 s26, v6
	v_readfirstlane_b32 s24, v1
	s_mul_i32 s25, s3, s26
	s_mul_hi_u32 s28, s3, s24
	s_mul_i32 s27, s7, s24
	s_add_i32 s25, s28, s25
	s_add_i32 s25, s25, s27
	s_mul_i32 s29, s3, s24
	s_mul_i32 s28, s24, s25
	s_mul_hi_u32 s30, s24, s29
	s_mul_hi_u32 s27, s24, s25
	s_add_u32 s28, s30, s28
	s_addc_u32 s27, 0, s27
	s_mul_hi_u32 s31, s26, s29
	s_mul_i32 s29, s26, s29
	s_add_u32 s28, s28, s29
	s_mul_hi_u32 s30, s26, s25
	s_addc_u32 s27, s27, s31
	s_addc_u32 s28, s30, 0
	s_mul_i32 s25, s26, s25
	s_add_u32 s25, s27, s25
	s_addc_u32 s27, 0, s28
	s_add_u32 s28, s24, s25
	s_cselect_b64 s[24:25], -1, 0
	s_cmp_lg_u64 s[24:25], 0
	s_addc_u32 s26, s26, s27
	s_mul_i32 s24, s3, s26
	s_mul_hi_u32 s25, s3, s28
	s_add_i32 s24, s25, s24
	s_mul_i32 s7, s7, s28
	s_add_i32 s24, s24, s7
	s_mul_i32 s3, s3, s28
	s_mul_hi_u32 s25, s26, s3
	s_mul_i32 s27, s26, s3
	s_mul_i32 s30, s28, s24
	s_mul_hi_u32 s3, s28, s3
	s_mul_hi_u32 s29, s28, s24
	s_add_u32 s3, s3, s30
	s_addc_u32 s29, 0, s29
	s_add_u32 s3, s3, s27
	s_mul_hi_u32 s7, s26, s24
	s_addc_u32 s3, s29, s25
	s_addc_u32 s7, s7, 0
	s_mul_i32 s24, s26, s24
	s_add_u32 s3, s3, s24
	s_addc_u32 s7, 0, s7
	s_add_u32 s3, s28, s3
	s_cselect_b64 s[24:25], -1, 0
	s_cmp_lg_u64 s[24:25], 0
	s_addc_u32 s7, s26, s7
	s_ashr_i32 s24, s19, 31
	s_add_u32 s26, s18, s24
	s_mov_b32 s25, s24
	s_addc_u32 s27, s19, s24
	s_xor_b64 s[26:27], s[26:27], s[24:25]
	s_mul_i32 s28, s26, s7
	s_mul_hi_u32 s29, s26, s3
	s_mul_hi_u32 s19, s26, s7
	s_add_u32 s28, s29, s28
	s_addc_u32 s19, 0, s19
	s_mul_hi_u32 s30, s27, s3
	s_mul_i32 s3, s27, s3
	s_add_u32 s3, s28, s3
	s_mul_hi_u32 s29, s27, s7
	s_addc_u32 s3, s19, s30
	s_addc_u32 s19, s29, 0
	s_mul_i32 s7, s27, s7
	s_add_u32 s3, s3, s7
	s_addc_u32 s7, 0, s19
	s_mul_i32 s19, s22, s7
	s_mul_hi_u32 s28, s22, s3
	s_add_i32 s19, s28, s19
	s_mul_i32 s28, s23, s3
	s_add_i32 s19, s19, s28
	s_sub_i32 s30, s27, s19
	s_mul_i32 s28, s22, s3
	s_sub_u32 s26, s26, s28
	s_cselect_b64 s[28:29], -1, 0
	s_cmp_lg_u64 s[28:29], 0
	s_subb_u32 s33, s30, s23
	s_sub_u32 s34, s26, s22
	s_cselect_b64 s[30:31], -1, 0
	s_cmp_lg_u64 s[30:31], 0
	s_subb_u32 s30, s33, 0
	s_cmp_ge_u32 s30, s23
	s_cselect_b32 s31, -1, 0
	s_cmp_ge_u32 s34, s22
	s_cselect_b32 s33, -1, 0
	s_cmp_eq_u32 s30, s23
	s_cselect_b32 s30, s33, s31
	s_add_u32 s31, s3, 1
	s_addc_u32 s33, s7, 0
	s_add_u32 s34, s3, 2
	s_addc_u32 s35, s7, 0
	s_cmp_lg_u32 s30, 0
	s_cselect_b32 s30, s34, s31
	s_cselect_b32 s31, s35, s33
	s_cmp_lg_u64 s[28:29], 0
	s_subb_u32 s19, s27, s19
	s_cmp_ge_u32 s19, s23
	s_cselect_b32 s27, -1, 0
	s_cmp_ge_u32 s26, s22
	s_cselect_b32 s22, -1, 0
	s_cmp_eq_u32 s19, s23
	s_cselect_b32 s19, s22, s27
	s_cmp_lg_u32 s19, 0
	s_cselect_b32 s23, s31, s7
	s_cselect_b32 s22, s30, s3
	s_xor_b64 s[16:17], s[24:25], s[16:17]
	s_xor_b64 s[22:23], s[22:23], s[16:17]
	s_sub_u32 s28, s22, s16
	s_subb_u32 s29, s23, s17
	s_cbranch_execnz .LBB5_9
.LBB5_8:
	v_cvt_f32_u32_e32 v1, s10
	s_sub_i32 s3, 0, s10
	s_mov_b32 s29, 0
	v_rcp_iflag_f32_e32 v1, v1
	s_nop 0
	v_mul_f32_e32 v1, 0x4f7ffffe, v1
	v_cvt_u32_f32_e32 v1, v1
	s_nop 0
	v_readfirstlane_b32 s7, v1
	s_mul_i32 s3, s3, s7
	s_mul_hi_u32 s3, s7, s3
	s_add_i32 s7, s7, s3
	s_mul_hi_u32 s3, s18, s7
	s_mul_i32 s16, s3, s10
	s_sub_i32 s16, s18, s16
	s_add_i32 s7, s3, 1
	s_sub_i32 s17, s16, s10
	s_cmp_ge_u32 s16, s10
	s_cselect_b32 s3, s7, s3
	s_cselect_b32 s16, s17, s16
	s_add_i32 s7, s3, 1
	s_cmp_ge_u32 s16, s10
	s_cselect_b32 s28, s7, s3
.LBB5_9:
	s_waitcnt lgkmcnt(0)
	v_cmp_lt_i64_e64 s[16:17], s[10:11], 1
	s_and_b64 vcc, exec, s[16:17]
	s_cbranch_vccnz .LBB5_45
; %bb.10:
	s_mov_b32 s7, 0
	v_bfe_u32 v6, v0, 10, 10
	v_mov_b32_e32 v7, 0
	s_lshl_b32 s6, s6, 5
	v_lshl_add_u64 v[8:9], s[6:7], 0, v[6:7]
	s_load_dwordx2 s[6:7], s[0:1], 0x4
	s_load_dwordx4 s[24:27], s[0:1], 0x68
	s_load_dword s33, s[0:1], 0x58
	s_load_dwordx8 s[16:23], s[0:1], 0x38
	s_mul_i32 s0, s11, s2
	s_mul_hi_u32 s1, s10, s2
	s_add_i32 s31, s1, s0
	s_waitcnt lgkmcnt(0)
	s_cmpk_eq_i32 s6, 0x6f
	s_cselect_b64 s[40:41], -1, 0
	s_cmp_lg_u32 s33, 1
	s_cselect_b64 s[42:43], -1, 0
	s_cmp_lg_u32 s7, 0
	v_cmp_gt_i64_e64 s[0:1], s[14:15], v[8:9]
	s_cselect_b64 s[14:15], -1, 0
	s_cmp_lg_u32 s8, 1
	v_mad_u64_u32 v[12:13], s[6:7], s26, v8, 0
	s_cselect_b64 s[36:37], -1, 0
	v_mul_lo_u32 v11, s27, v8
	v_mul_lo_u32 v14, s26, v9
	s_xor_b64 s[6:7], s[40:41], s[42:43]
	v_and_b32_e32 v0, 0x3ff, v0
	s_mul_i32 s30, s10, s2
	v_add3_u32 v13, v13, v14, v11
	s_xor_b64 s[40:41], s[6:7], -1
	v_mul_lo_u32 v11, s23, v8
	v_mul_lo_u32 v16, s22, v9
	v_mad_u64_u32 v[14:15], s[6:7], s22, v8, 0
	v_lshlrev_b32_e32 v10, 3, v0
	v_add3_u32 v15, v15, v16, v11
	v_mov_b32_e32 v11, v7
	s_lshl_b64 s[6:7], s[30:31], 3
	v_lshl_add_u64 v[16:17], s[6:7], 0, v[10:11]
	v_lshlrev_b32_e32 v20, 3, v6
	v_mov_b32_e32 v21, v7
	s_mov_b32 s3, s9
	v_mul_lo_u32 v18, s10, v17
	v_mul_lo_u32 v19, s11, v16
	v_mad_u64_u32 v[16:17], s[8:9], s10, v16, v[20:21]
	s_mul_i32 s8, s10, s11
	s_mul_hi_u32 s9, s10, s10
	s_add_i32 s9, s9, s8
	s_mul_i32 s33, s10, s10
	v_lshl_add_u64 v[20:21], s[6:7], 0, v[20:21]
	s_add_i32 s8, s9, s8
	s_mul_i32 s9, s33, s13
	s_mul_hi_u32 s46, s33, s12
	v_mul_lo_u32 v23, s10, v21
	v_mul_lo_u32 v24, s11, v20
	v_mad_u64_u32 v[20:21], s[6:7], s10, v20, v[10:11]
	s_add_i32 s9, s46, s9
	s_mul_i32 s8, s8, s12
	v_cmp_gt_i64_e64 s[6:7], s[28:29], 0
	v_or_b32_e32 v22, 0x2000, v10
	v_lshlrev_b32_e32 v40, 8, v6
	v_lshl_add_u64 v[14:15], v[14:15], 3, v[10:11]
	v_add3_u32 v17, v19, v17, v18
	s_add_i32 s9, s9, s8
	s_mul_i32 s8, s33, s12
	v_add3_u32 v21, v24, v21, v23
	v_cndmask_b32_e64 v11, 0, 1, s[6:7]
	v_mov_b32_e32 v1, v7
	s_mov_b64 s[34:35], 0
	s_and_b64 s[38:39], s[4:5], s[0:1]
	v_cmp_neq_f64_e64 s[4:5], 0, v[4:5]
	v_lshl_add_u64 v[14:15], s[20:21], 0, v[14:15]
	s_lshl_b64 s[42:43], s[10:11], 3
	v_lshl_add_u64 v[16:17], s[18:19], 0, v[16:17]
	s_lshl_b64 s[44:45], s[10:11], 8
	s_lshl_b64 s[46:47], s[8:9], 3
	v_lshl_add_u64 v[18:19], v[8:9], 3, s[20:21]
	s_lshl_b64 s[20:21], s[22:23], 3
	s_lshl_b64 s[22:23], s[22:23], 8
	v_lshl_add_u64 v[20:21], s[18:19], 0, v[20:21]
	v_cmp_ne_u32_e64 s[6:7], 1, v11
	v_add_u32_e32 v11, v22, v40
	v_add_u32_e32 v41, v10, v40
	s_mov_b64 s[18:19], 0x100
	v_add_u32_e32 v42, 0x800, v10
	v_add_u32_e32 v43, 0x1000, v10
	;; [unrolled: 1-line block ×3, first 2 shown]
	s_branch .LBB5_12
.LBB5_11:                               ;   in Loop: Header=BB5_12 Depth=1
	s_or_b64 exec, exec, s[8:9]
	s_add_u32 s34, s34, 32
	s_addc_u32 s35, s35, 0
	v_mov_b64_e32 v[22:23], s[10:11]
	v_cmp_lt_i64_e32 vcc, s[34:35], v[22:23]
	v_lshl_add_u64 v[16:17], v[16:17], 0, s[44:45]
	v_lshl_add_u64 v[20:21], v[20:21], 0, s[18:19]
	s_cbranch_vccz .LBB5_45
.LBB5_12:                               ; =>This Loop Header: Depth=1
                                        ;     Child Loop BB5_15 Depth 2
                                        ;       Child Loop BB5_17 Depth 3
	v_lshl_add_u64 v[24:25], s[34:35], 0, v[0:1]
	s_and_b64 vcc, exec, s[6:7]
	v_cmp_gt_i64_e64 s[8:9], s[10:11], v[24:25]
	s_cbranch_vccnz .LBB5_35
; %bb.13:                               ;   in Loop: Header=BB5_12 Depth=1
	s_mov_b64 s[48:49], 0
	v_mov_b64_e32 v[22:23], 0
	v_mov_b64_e32 v[26:27], v[20:21]
	;; [unrolled: 1-line block ×3, first 2 shown]
	s_branch .LBB5_15
.LBB5_14:                               ;   in Loop: Header=BB5_15 Depth=2
	s_add_u32 s48, s48, 1
	s_addc_u32 s49, s49, 0
	v_lshl_add_u64 v[28:29], v[28:29], 0, s[46:47]
	s_cmp_eq_u64 s[48:49], s[28:29]
	v_lshl_add_u64 v[26:27], v[26:27], 0, s[46:47]
	s_cbranch_scc1 .LBB5_36
.LBB5_15:                               ;   Parent Loop BB5_12 Depth=1
                                        ; =>  This Loop Header: Depth=2
                                        ;       Child Loop BB5_17 Depth 3
	s_mul_i32 s33, s48, s13
	s_mul_hi_u32 s50, s48, s12
	s_add_i32 s33, s50, s33
	s_mul_i32 s50, s49, s12
	s_add_i32 s33, s33, s50
	s_mul_i32 s50, s48, s12
	s_add_u32 s50, s50, s2
	s_addc_u32 s51, s33, 0
	s_lshl_b64 s[50:51], s[50:51], 3
	s_add_u32 s50, s16, s50
	s_addc_u32 s51, s17, s51
	s_load_dwordx2 s[50:51], s[50:51], 0x0
	v_mov_b32_e32 v32, s10
	v_mov_b64_e32 v[36:37], v[28:29]
	s_waitcnt lgkmcnt(0)
	s_sub_u32 s50, s50, s3
	s_subb_u32 s51, s51, 0
	s_mul_i32 s33, s43, s50
	s_mul_i32 s52, s42, s51
	v_mov_b32_e32 v30, s50
	s_add_i32 s33, s52, s33
	v_mad_u64_u32 v[30:31], s[52:53], s42, v30, v[14:15]
	v_add_u32_e32 v31, s33, v31
	s_mul_i32 s33, s51, s10
	s_mul_i32 s52, s50, s11
	s_add_i32 s33, s52, s33
	v_mad_u64_u32 v[32:33], s[52:53], s50, v32, v[0:1]
	v_add_u32_e32 v33, s33, v33
	v_mul_lo_u32 v34, s20, v33
	v_mul_lo_u32 v35, s21, v32
	v_mad_u64_u32 v[32:33], s[52:53], s20, v32, v[18:19]
	v_add3_u32 v33, v35, v33, v34
	v_cmp_gt_i64_e64 s[50:51], s[50:51], -1
	v_mov_b64_e32 v[34:35], v[26:27]
	s_mov_b64 s[52:53], 0
	s_branch .LBB5_17
.LBB5_16:                               ;   in Loop: Header=BB5_17 Depth=3
	s_add_u32 s52, s52, 32
	s_addc_u32 s53, s53, 0
	v_mov_b64_e32 v[38:39], s[10:11]
	v_cmp_ge_i64_e32 vcc, s[52:53], v[38:39]
	v_lshl_add_u64 v[30:31], v[30:31], 0, s[18:19]
	v_lshl_add_u64 v[36:37], v[36:37], 0, s[18:19]
	;; [unrolled: 1-line block ×4, first 2 shown]
	s_barrier
	s_cbranch_vccnz .LBB5_14
.LBB5_17:                               ;   Parent Loop BB5_12 Depth=1
                                        ;     Parent Loop BB5_15 Depth=2
                                        ; =>    This Inner Loop Header: Depth=3
	v_lshl_add_u64 v[38:39], v[0:1], 0, s[52:53]
	v_cmp_gt_i64_e32 vcc, s[10:11], v[38:39]
	s_and_b64 s[54:55], s[0:1], vcc
	s_and_b64 s[54:55], s[54:55], s[50:51]
	s_mov_b64 s[56:57], -1
	s_and_b64 vcc, exec, s[40:41]
                                        ; implicit-def: $vgpr38_vgpr39
	s_cbranch_vccz .LBB5_21
; %bb.18:                               ;   in Loop: Header=BB5_17 Depth=3
	v_mov_b64_e32 v[38:39], 0
	s_and_saveexec_b64 s[56:57], s[54:55]
	s_cbranch_execz .LBB5_20
; %bb.19:                               ;   in Loop: Header=BB5_17 Depth=3
	global_load_dwordx2 v[38:39], v[32:33], off
.LBB5_20:                               ;   in Loop: Header=BB5_17 Depth=3
	s_or_b64 exec, exec, s[56:57]
	s_mov_b64 s[56:57], 0
.LBB5_21:                               ;   in Loop: Header=BB5_17 Depth=3
	s_andn2_b64 vcc, exec, s[56:57]
	s_cbranch_vccnz .LBB5_25
; %bb.22:                               ;   in Loop: Header=BB5_17 Depth=3
	s_waitcnt vmcnt(0)
	v_mov_b64_e32 v[38:39], 0
	s_and_saveexec_b64 s[56:57], s[54:55]
	s_cbranch_execz .LBB5_24
; %bb.23:                               ;   in Loop: Header=BB5_17 Depth=3
	global_load_dwordx2 v[38:39], v[30:31], off
.LBB5_24:                               ;   in Loop: Header=BB5_17 Depth=3
	s_or_b64 exec, exec, s[56:57]
.LBB5_25:                               ;   in Loop: Header=BB5_17 Depth=3
	v_lshl_add_u64 v[46:47], v[6:7], 0, s[52:53]
	v_cmp_gt_i64_e32 vcc, s[10:11], v[46:47]
	s_and_b64 s[54:55], s[8:9], vcc
	s_and_b64 s[54:55], s[54:55], s[50:51]
	s_and_b64 vcc, exec, s[14:15]
	s_waitcnt vmcnt(0)
	ds_write_b64 v11, v[38:39]
	s_cbranch_vccz .LBB5_29
; %bb.26:                               ;   in Loop: Header=BB5_17 Depth=3
	v_mov_b64_e32 v[38:39], 0
	s_and_saveexec_b64 s[56:57], s[54:55]
	s_cbranch_execz .LBB5_28
; %bb.27:                               ;   in Loop: Header=BB5_17 Depth=3
	global_load_dwordx2 v[38:39], v[34:35], off
.LBB5_28:                               ;   in Loop: Header=BB5_17 Depth=3
	s_or_b64 exec, exec, s[56:57]
	s_cbranch_execz .LBB5_30
	s_branch .LBB5_33
.LBB5_29:                               ;   in Loop: Header=BB5_17 Depth=3
                                        ; implicit-def: $vgpr38_vgpr39
.LBB5_30:                               ;   in Loop: Header=BB5_17 Depth=3
	s_waitcnt vmcnt(0)
	v_mov_b64_e32 v[38:39], 0
	s_and_saveexec_b64 s[56:57], s[54:55]
	s_cbranch_execz .LBB5_32
; %bb.31:                               ;   in Loop: Header=BB5_17 Depth=3
	global_load_dwordx2 v[38:39], v[36:37], off
.LBB5_32:                               ;   in Loop: Header=BB5_17 Depth=3
	s_or_b64 exec, exec, s[56:57]
.LBB5_33:                               ;   in Loop: Header=BB5_17 Depth=3
	s_andn2_b64 vcc, exec, s[50:51]
	s_waitcnt vmcnt(0)
	ds_write_b64 v41, v[38:39]
	s_waitcnt lgkmcnt(0)
	s_barrier
	s_cbranch_vccnz .LBB5_16
; %bb.34:                               ;   in Loop: Header=BB5_17 Depth=3
	ds_read2_b64 v[46:49], v10 offset1:32
	ds_read_b128 v[50:53], v40 offset:8192
	ds_read_b128 v[54:57], v40 offset:8208
	ds_read2_b64 v[58:61], v10 offset0:64 offset1:96
	ds_read_b128 v[62:65], v40 offset:8224
	ds_read_b128 v[66:69], v40 offset:8240
	ds_read2_b64 v[70:73], v10 offset0:128 offset1:160
	s_waitcnt lgkmcnt(5)
	v_fmac_f64_e32 v[22:23], v[46:47], v[50:51]
	v_fmac_f64_e32 v[22:23], v[48:49], v[52:53]
	ds_read2_b64 v[46:49], v10 offset0:192 offset1:224
	s_waitcnt lgkmcnt(4)
	v_fmac_f64_e32 v[22:23], v[58:59], v[54:55]
	v_fmac_f64_e32 v[22:23], v[60:61], v[56:57]
	s_waitcnt lgkmcnt(1)
	v_fmac_f64_e32 v[22:23], v[70:71], v[62:63]
	v_fmac_f64_e32 v[22:23], v[72:73], v[64:65]
	ds_read2_b64 v[50:53], v42 offset1:32
	ds_read_b128 v[54:57], v40 offset:8256
	s_waitcnt lgkmcnt(2)
	v_fmac_f64_e32 v[22:23], v[46:47], v[66:67]
	v_fmac_f64_e32 v[22:23], v[48:49], v[68:69]
	ds_read2_b64 v[46:49], v42 offset0:64 offset1:96
	ds_read_b128 v[58:61], v40 offset:8272
	s_waitcnt lgkmcnt(2)
	v_fmac_f64_e32 v[22:23], v[50:51], v[54:55]
	v_fmac_f64_e32 v[22:23], v[52:53], v[56:57]
	ds_read2_b64 v[50:53], v42 offset0:128 offset1:160
	;; [unrolled: 5-line block ×3, first 2 shown]
	ds_read_b128 v[58:61], v40 offset:8304
	s_waitcnt lgkmcnt(2)
	v_fmac_f64_e32 v[22:23], v[50:51], v[54:55]
	v_fmac_f64_e32 v[22:23], v[52:53], v[56:57]
	ds_read2_b64 v[50:53], v43 offset1:32
	ds_read_b128 v[54:57], v40 offset:8320
	s_waitcnt lgkmcnt(2)
	v_fmac_f64_e32 v[22:23], v[46:47], v[58:59]
	v_fmac_f64_e32 v[22:23], v[48:49], v[60:61]
	ds_read2_b64 v[46:49], v43 offset0:64 offset1:96
	ds_read_b128 v[58:61], v40 offset:8336
	s_waitcnt lgkmcnt(2)
	v_fmac_f64_e32 v[22:23], v[50:51], v[54:55]
	v_fmac_f64_e32 v[22:23], v[52:53], v[56:57]
	ds_read2_b64 v[50:53], v43 offset0:128 offset1:160
	;; [unrolled: 5-line block ×3, first 2 shown]
	ds_read_b128 v[58:61], v40 offset:8368
	ds_read2_b64 v[62:65], v44 offset1:32
	ds_read_b128 v[66:69], v40 offset:8384
	s_waitcnt lgkmcnt(4)
	v_fmac_f64_e32 v[22:23], v[50:51], v[54:55]
	v_fmac_f64_e32 v[22:23], v[52:53], v[56:57]
	s_waitcnt lgkmcnt(2)
	v_fmac_f64_e32 v[22:23], v[46:47], v[58:59]
	v_fmac_f64_e32 v[22:23], v[48:49], v[60:61]
	ds_read_b128 v[46:49], v40 offset:8400
	s_waitcnt lgkmcnt(1)
	v_fmac_f64_e32 v[22:23], v[62:63], v[66:67]
	v_fmac_f64_e32 v[22:23], v[64:65], v[68:69]
	ds_read2_b64 v[50:53], v44 offset0:64 offset1:96
	ds_read2_b64 v[54:57], v44 offset0:128 offset1:160
	ds_read_b128 v[58:61], v40 offset:8416
	ds_read2_b64 v[62:65], v44 offset0:192 offset1:224
	ds_read_b128 v[66:69], v40 offset:8432
	s_waitcnt lgkmcnt(4)
	v_fmac_f64_e32 v[22:23], v[50:51], v[46:47]
	v_fmac_f64_e32 v[22:23], v[52:53], v[48:49]
	s_waitcnt lgkmcnt(2)
	v_fmac_f64_e32 v[22:23], v[54:55], v[58:59]
	v_fmac_f64_e32 v[22:23], v[56:57], v[60:61]
	;; [unrolled: 3-line block ×3, first 2 shown]
	s_branch .LBB5_16
.LBB5_35:                               ;   in Loop: Header=BB5_12 Depth=1
	v_mov_b64_e32 v[22:23], 0
.LBB5_36:                               ;   in Loop: Header=BB5_12 Depth=1
	v_lshl_add_u64 v[28:29], v[24:25], 0, s[30:31]
	s_mov_b64 s[8:9], -1
	s_and_b64 vcc, exec, s[36:37]
                                        ; implicit-def: $vgpr26_vgpr27
	s_cbranch_vccnz .LBB5_39
; %bb.37:                               ;   in Loop: Header=BB5_12 Depth=1
	s_andn2_b64 vcc, exec, s[8:9]
	s_cbranch_vccz .LBB5_40
.LBB5_38:                               ;   in Loop: Header=BB5_12 Depth=1
	v_cmp_gt_i64_e32 vcc, s[10:11], v[24:25]
	s_and_b64 s[48:49], s[38:39], vcc
	s_and_saveexec_b64 s[8:9], s[48:49]
	s_cbranch_execz .LBB5_11
	s_branch .LBB5_41
.LBB5_39:                               ;   in Loop: Header=BB5_12 Depth=1
	v_mad_u64_u32 v[26:27], s[8:9], v28, s26, v[8:9]
	v_mul_lo_u32 v30, v28, s27
	v_mul_lo_u32 v31, v29, s26
	v_add3_u32 v27, v31, v27, v30
	s_cbranch_execnz .LBB5_38
.LBB5_40:                               ;   in Loop: Header=BB5_12 Depth=1
	v_lshl_add_u64 v[26:27], v[28:29], 0, v[12:13]
	v_cmp_gt_i64_e32 vcc, s[10:11], v[24:25]
	s_and_b64 s[48:49], s[38:39], vcc
	s_and_saveexec_b64 s[8:9], s[48:49]
	s_cbranch_execz .LBB5_11
.LBB5_41:                               ;   in Loop: Header=BB5_12 Depth=1
	v_mul_f64 v[24:25], v[2:3], v[22:23]
	v_lshl_add_u64 v[22:23], v[26:27], 3, s[24:25]
	s_and_saveexec_b64 s[48:49], s[4:5]
	s_xor_b64 s[48:49], exec, s[48:49]
	s_cbranch_execz .LBB5_43
; %bb.42:                               ;   in Loop: Header=BB5_12 Depth=1
	global_load_dwordx2 v[26:27], v[22:23], off
	s_waitcnt vmcnt(0)
	v_fmac_f64_e32 v[24:25], v[4:5], v[26:27]
	global_store_dwordx2 v[22:23], v[24:25], off
                                        ; implicit-def: $vgpr22_vgpr23
                                        ; implicit-def: $vgpr24_vgpr25
.LBB5_43:                               ;   in Loop: Header=BB5_12 Depth=1
	s_andn2_saveexec_b64 s[48:49], s[48:49]
	s_cbranch_execz .LBB5_11
; %bb.44:                               ;   in Loop: Header=BB5_12 Depth=1
	global_store_dwordx2 v[22:23], v[24:25], off
	s_branch .LBB5_11
.LBB5_45:
	s_endpgm
.LBB5_46:
                                        ; implicit-def: $sgpr28_sgpr29
	s_branch .LBB5_8
	.section	.rodata,"a",@progbits
	.p2align	6, 0x0
	.amdhsa_kernel _ZN9rocsparseL30bellmm_general_blockdim_kernelILi32ELi32EdldddEEv20rocsparse_operation_S1_20rocsparse_direction_T2_S3_NS_24const_host_device_scalarIT1_EES3_S3_PKS3_PKT3_PKT4_l16rocsparse_order_S6_PT5_lSF_21rocsparse_index_base_b
		.amdhsa_group_segment_fixed_size 16384
		.amdhsa_private_segment_fixed_size 0
		.amdhsa_kernarg_size 132
		.amdhsa_user_sgpr_count 2
		.amdhsa_user_sgpr_dispatch_ptr 0
		.amdhsa_user_sgpr_queue_ptr 0
		.amdhsa_user_sgpr_kernarg_segment_ptr 1
		.amdhsa_user_sgpr_dispatch_id 0
		.amdhsa_user_sgpr_kernarg_preload_length 0
		.amdhsa_user_sgpr_kernarg_preload_offset 0
		.amdhsa_user_sgpr_private_segment_size 0
		.amdhsa_uses_dynamic_stack 0
		.amdhsa_enable_private_segment 0
		.amdhsa_system_sgpr_workgroup_id_x 1
		.amdhsa_system_sgpr_workgroup_id_y 1
		.amdhsa_system_sgpr_workgroup_id_z 0
		.amdhsa_system_sgpr_workgroup_info 0
		.amdhsa_system_vgpr_workitem_id 1
		.amdhsa_next_free_vgpr 74
		.amdhsa_next_free_sgpr 58
		.amdhsa_accum_offset 76
		.amdhsa_reserve_vcc 1
		.amdhsa_float_round_mode_32 0
		.amdhsa_float_round_mode_16_64 0
		.amdhsa_float_denorm_mode_32 3
		.amdhsa_float_denorm_mode_16_64 3
		.amdhsa_dx10_clamp 1
		.amdhsa_ieee_mode 1
		.amdhsa_fp16_overflow 0
		.amdhsa_tg_split 0
		.amdhsa_exception_fp_ieee_invalid_op 0
		.amdhsa_exception_fp_denorm_src 0
		.amdhsa_exception_fp_ieee_div_zero 0
		.amdhsa_exception_fp_ieee_overflow 0
		.amdhsa_exception_fp_ieee_underflow 0
		.amdhsa_exception_fp_ieee_inexact 0
		.amdhsa_exception_int_div_zero 0
	.end_amdhsa_kernel
	.section	.text._ZN9rocsparseL30bellmm_general_blockdim_kernelILi32ELi32EdldddEEv20rocsparse_operation_S1_20rocsparse_direction_T2_S3_NS_24const_host_device_scalarIT1_EES3_S3_PKS3_PKT3_PKT4_l16rocsparse_order_S6_PT5_lSF_21rocsparse_index_base_b,"axG",@progbits,_ZN9rocsparseL30bellmm_general_blockdim_kernelILi32ELi32EdldddEEv20rocsparse_operation_S1_20rocsparse_direction_T2_S3_NS_24const_host_device_scalarIT1_EES3_S3_PKS3_PKT3_PKT4_l16rocsparse_order_S6_PT5_lSF_21rocsparse_index_base_b,comdat
.Lfunc_end5:
	.size	_ZN9rocsparseL30bellmm_general_blockdim_kernelILi32ELi32EdldddEEv20rocsparse_operation_S1_20rocsparse_direction_T2_S3_NS_24const_host_device_scalarIT1_EES3_S3_PKS3_PKT3_PKT4_l16rocsparse_order_S6_PT5_lSF_21rocsparse_index_base_b, .Lfunc_end5-_ZN9rocsparseL30bellmm_general_blockdim_kernelILi32ELi32EdldddEEv20rocsparse_operation_S1_20rocsparse_direction_T2_S3_NS_24const_host_device_scalarIT1_EES3_S3_PKS3_PKT3_PKT4_l16rocsparse_order_S6_PT5_lSF_21rocsparse_index_base_b
                                        ; -- End function
	.set _ZN9rocsparseL30bellmm_general_blockdim_kernelILi32ELi32EdldddEEv20rocsparse_operation_S1_20rocsparse_direction_T2_S3_NS_24const_host_device_scalarIT1_EES3_S3_PKS3_PKT3_PKT4_l16rocsparse_order_S6_PT5_lSF_21rocsparse_index_base_b.num_vgpr, 74
	.set _ZN9rocsparseL30bellmm_general_blockdim_kernelILi32ELi32EdldddEEv20rocsparse_operation_S1_20rocsparse_direction_T2_S3_NS_24const_host_device_scalarIT1_EES3_S3_PKS3_PKT3_PKT4_l16rocsparse_order_S6_PT5_lSF_21rocsparse_index_base_b.num_agpr, 0
	.set _ZN9rocsparseL30bellmm_general_blockdim_kernelILi32ELi32EdldddEEv20rocsparse_operation_S1_20rocsparse_direction_T2_S3_NS_24const_host_device_scalarIT1_EES3_S3_PKS3_PKT3_PKT4_l16rocsparse_order_S6_PT5_lSF_21rocsparse_index_base_b.numbered_sgpr, 58
	.set _ZN9rocsparseL30bellmm_general_blockdim_kernelILi32ELi32EdldddEEv20rocsparse_operation_S1_20rocsparse_direction_T2_S3_NS_24const_host_device_scalarIT1_EES3_S3_PKS3_PKT3_PKT4_l16rocsparse_order_S6_PT5_lSF_21rocsparse_index_base_b.num_named_barrier, 0
	.set _ZN9rocsparseL30bellmm_general_blockdim_kernelILi32ELi32EdldddEEv20rocsparse_operation_S1_20rocsparse_direction_T2_S3_NS_24const_host_device_scalarIT1_EES3_S3_PKS3_PKT3_PKT4_l16rocsparse_order_S6_PT5_lSF_21rocsparse_index_base_b.private_seg_size, 0
	.set _ZN9rocsparseL30bellmm_general_blockdim_kernelILi32ELi32EdldddEEv20rocsparse_operation_S1_20rocsparse_direction_T2_S3_NS_24const_host_device_scalarIT1_EES3_S3_PKS3_PKT3_PKT4_l16rocsparse_order_S6_PT5_lSF_21rocsparse_index_base_b.uses_vcc, 1
	.set _ZN9rocsparseL30bellmm_general_blockdim_kernelILi32ELi32EdldddEEv20rocsparse_operation_S1_20rocsparse_direction_T2_S3_NS_24const_host_device_scalarIT1_EES3_S3_PKS3_PKT3_PKT4_l16rocsparse_order_S6_PT5_lSF_21rocsparse_index_base_b.uses_flat_scratch, 0
	.set _ZN9rocsparseL30bellmm_general_blockdim_kernelILi32ELi32EdldddEEv20rocsparse_operation_S1_20rocsparse_direction_T2_S3_NS_24const_host_device_scalarIT1_EES3_S3_PKS3_PKT3_PKT4_l16rocsparse_order_S6_PT5_lSF_21rocsparse_index_base_b.has_dyn_sized_stack, 0
	.set _ZN9rocsparseL30bellmm_general_blockdim_kernelILi32ELi32EdldddEEv20rocsparse_operation_S1_20rocsparse_direction_T2_S3_NS_24const_host_device_scalarIT1_EES3_S3_PKS3_PKT3_PKT4_l16rocsparse_order_S6_PT5_lSF_21rocsparse_index_base_b.has_recursion, 0
	.set _ZN9rocsparseL30bellmm_general_blockdim_kernelILi32ELi32EdldddEEv20rocsparse_operation_S1_20rocsparse_direction_T2_S3_NS_24const_host_device_scalarIT1_EES3_S3_PKS3_PKT3_PKT4_l16rocsparse_order_S6_PT5_lSF_21rocsparse_index_base_b.has_indirect_call, 0
	.section	.AMDGPU.csdata,"",@progbits
; Kernel info:
; codeLenInByte = 2556
; TotalNumSgprs: 64
; NumVgprs: 74
; NumAgprs: 0
; TotalNumVgprs: 74
; ScratchSize: 0
; MemoryBound: 0
; FloatMode: 240
; IeeeMode: 1
; LDSByteSize: 16384 bytes/workgroup (compile time only)
; SGPRBlocks: 7
; VGPRBlocks: 9
; NumSGPRsForWavesPerEU: 64
; NumVGPRsForWavesPerEU: 74
; AccumOffset: 76
; Occupancy: 6
; WaveLimiterHint : 1
; COMPUTE_PGM_RSRC2:SCRATCH_EN: 0
; COMPUTE_PGM_RSRC2:USER_SGPR: 2
; COMPUTE_PGM_RSRC2:TRAP_HANDLER: 0
; COMPUTE_PGM_RSRC2:TGID_X_EN: 1
; COMPUTE_PGM_RSRC2:TGID_Y_EN: 1
; COMPUTE_PGM_RSRC2:TGID_Z_EN: 0
; COMPUTE_PGM_RSRC2:TIDIG_COMP_CNT: 1
; COMPUTE_PGM_RSRC3_GFX90A:ACCUM_OFFSET: 18
; COMPUTE_PGM_RSRC3_GFX90A:TG_SPLIT: 0
	.section	.text._ZN9rocsparseL30bellmm_general_blockdim_kernelILi32ELi32E21rocsparse_complex_numIfEiS2_S2_S2_EEv20rocsparse_operation_S3_20rocsparse_direction_T2_S5_NS_24const_host_device_scalarIT1_EES5_S5_PKS5_PKT3_PKT4_l16rocsparse_order_S8_PT5_lSH_21rocsparse_index_base_b,"axG",@progbits,_ZN9rocsparseL30bellmm_general_blockdim_kernelILi32ELi32E21rocsparse_complex_numIfEiS2_S2_S2_EEv20rocsparse_operation_S3_20rocsparse_direction_T2_S5_NS_24const_host_device_scalarIT1_EES5_S5_PKS5_PKT3_PKT4_l16rocsparse_order_S8_PT5_lSH_21rocsparse_index_base_b,comdat
	.globl	_ZN9rocsparseL30bellmm_general_blockdim_kernelILi32ELi32E21rocsparse_complex_numIfEiS2_S2_S2_EEv20rocsparse_operation_S3_20rocsparse_direction_T2_S5_NS_24const_host_device_scalarIT1_EES5_S5_PKS5_PKT3_PKT4_l16rocsparse_order_S8_PT5_lSH_21rocsparse_index_base_b ; -- Begin function _ZN9rocsparseL30bellmm_general_blockdim_kernelILi32ELi32E21rocsparse_complex_numIfEiS2_S2_S2_EEv20rocsparse_operation_S3_20rocsparse_direction_T2_S5_NS_24const_host_device_scalarIT1_EES5_S5_PKS5_PKT3_PKT4_l16rocsparse_order_S8_PT5_lSH_21rocsparse_index_base_b
	.p2align	8
	.type	_ZN9rocsparseL30bellmm_general_blockdim_kernelILi32ELi32E21rocsparse_complex_numIfEiS2_S2_S2_EEv20rocsparse_operation_S3_20rocsparse_direction_T2_S5_NS_24const_host_device_scalarIT1_EES5_S5_PKS5_PKT3_PKT4_l16rocsparse_order_S8_PT5_lSH_21rocsparse_index_base_b,@function
_ZN9rocsparseL30bellmm_general_blockdim_kernelILi32ELi32E21rocsparse_complex_numIfEiS2_S2_S2_EEv20rocsparse_operation_S3_20rocsparse_direction_T2_S5_NS_24const_host_device_scalarIT1_EES5_S5_PKS5_PKT3_PKT4_l16rocsparse_order_S8_PT5_lSH_21rocsparse_index_base_b: ; @_ZN9rocsparseL30bellmm_general_blockdim_kernelILi32ELi32E21rocsparse_complex_numIfEiS2_S2_S2_EEv20rocsparse_operation_S3_20rocsparse_direction_T2_S5_NS_24const_host_device_scalarIT1_EES5_S5_PKS5_PKT3_PKT4_l16rocsparse_order_S8_PT5_lSH_21rocsparse_index_base_b
; %bb.0:
	s_load_dwordx2 s[4:5], s[0:1], 0x18
	s_load_dwordx2 s[6:7], s[0:1], 0x50
	s_load_dwordx4 s[20:23], s[0:1], 0x68
	s_add_u32 s8, s0, 24
	s_addc_u32 s9, s1, 0
	s_add_u32 s10, s0, 0x50
	s_addc_u32 s11, s1, 0
	s_waitcnt lgkmcnt(0)
	s_bitcmp1_b32 s22, 0
	s_cselect_b32 s5, s9, s5
	s_cselect_b32 s4, s8, s4
	v_mov_b32_e32 v2, s4
	v_mov_b32_e32 v3, s5
	s_cselect_b32 s4, s11, s7
	s_cselect_b32 s5, s10, s6
	flat_load_dwordx2 v[16:17], v[2:3]
	v_mov_b32_e32 v2, s5
	v_mov_b32_e32 v3, s4
	flat_load_dwordx2 v[18:19], v[2:3]
	s_mov_b32 s33, 0
	s_waitcnt vmcnt(0) lgkmcnt(0)
	v_cmp_eq_f32_e64 s[4:5], 0, v16
	v_cmp_eq_f32_e64 s[6:7], 0, v17
	s_and_b64 s[4:5], s[4:5], s[6:7]
	v_cmp_eq_f32_e64 s[8:9], 1.0, v18
	v_cmp_eq_f32_e32 vcc, 0, v19
	s_and_b64 s[6:7], s[8:9], vcc
	s_and_b64 s[4:5], s[4:5], s[6:7]
	s_xor_b64 s[4:5], s[4:5], -1
	s_and_saveexec_b64 s[6:7], s[4:5]
	s_cbranch_execz .LBB6_55
; %bb.1:
	s_load_dwordx4 s[8:11], s[0:1], 0x0
	s_load_dwordx2 s[22:23], s[0:1], 0x20
	s_waitcnt lgkmcnt(0)
	s_cmp_lt_i32 s2, s11
	s_cselect_b64 s[4:5], -1, 0
	s_cmp_ge_i32 s2, s11
	s_cbranch_scc1 .LBB6_3
; %bb.2:
	s_abs_i32 s6, s23
	v_cvt_f32_u32_e32 v1, s6
	s_sub_i32 s13, 0, s6
	s_abs_i32 s12, s22
	s_xor_b32 s7, s22, s23
	v_rcp_iflag_f32_e32 v1, v1
	s_ashr_i32 s7, s7, 31
	v_mul_f32_e32 v1, 0x4f7ffffe, v1
	v_cvt_u32_f32_e32 v1, v1
	s_nop 0
	v_readfirstlane_b32 s14, v1
	s_mul_i32 s13, s13, s14
	s_mul_hi_u32 s13, s14, s13
	s_add_i32 s14, s14, s13
	s_mul_hi_u32 s13, s12, s14
	s_mul_i32 s14, s13, s6
	s_sub_i32 s12, s12, s14
	s_add_i32 s15, s13, 1
	s_sub_i32 s14, s12, s6
	s_cmp_ge_u32 s12, s6
	s_cselect_b32 s13, s15, s13
	s_cselect_b32 s12, s14, s12
	s_add_i32 s14, s13, 1
	s_cmp_ge_u32 s12, s6
	s_cselect_b32 s6, s14, s13
	s_xor_b32 s6, s6, s7
	s_sub_i32 s33, s6, s7
.LBB6_3:
	s_cmp_lt_i32 s23, 1
	s_cbranch_scc1 .LBB6_55
; %bb.4:
	s_load_dwordx8 s[12:19], s[0:1], 0x28
	s_load_dword s28, s[0:1], 0x10
	s_load_dwordx4 s[24:27], s[0:1], 0x58
	s_load_dword s29, s[0:1], 0x48
	v_bfe_u32 v46, v0, 10, 10
	v_lshl_add_u32 v20, s3, 5, v46
	s_cmp_gt_i32 s33, 0
	v_ashrrev_i32_e32 v21, 31, v20
	s_cselect_b64 s[6:7], -1, 0
	s_cmpk_eq_i32 s9, 0x6f
	v_and_b32_e32 v47, 0x3ff, v0
	s_waitcnt lgkmcnt(0)
	v_mul_lo_u32 v2, s18, v21
	v_mul_lo_u32 v3, s19, v20
	v_mad_u64_u32 v[0:1], s[0:1], s18, v20, 0
	s_cselect_b64 s[42:43], -1, 0
	s_cmp_lg_u32 s29, 1
	v_add3_u32 v1, v1, v2, v3
	s_cselect_b64 s[44:45], -1, 0
	s_cmp_lg_u32 s10, 0
	v_lshl_add_u64 v[22:23], v[20:21], 3, s[16:17]
	v_lshl_add_u64 v[24:25], v[0:1], 3, s[16:17]
	s_cselect_b64 s[16:17], -1, 0
	s_cmpk_eq_i32 s9, 0x71
	s_cselect_b64 s[34:35], -1, 0
	s_cmpk_lg_i32 s9, 0x71
	v_cmp_gt_i32_e64 s[0:1], s28, v20
	s_cselect_b64 s[28:29], -1, 0
	s_cmpk_lg_i32 s8, 0x71
	s_cselect_b64 s[8:9], -1, 0
	s_and_b64 s[30:31], s[8:9], s[34:35]
	s_or_b64 s[28:29], s[8:9], s[28:29]
	s_xor_b64 s[30:31], s[30:31], -1
	s_or_b64 s[34:35], s[8:9], s[34:35]
	s_mul_i32 s3, s23, s2
	s_cmp_lg_u32 s20, 1
	v_mul_lo_u32 v0, s26, v21
	v_mul_lo_u32 v1, s27, v20
	v_mad_u64_u32 v[26:27], s[8:9], s26, v20, 0
	v_lshlrev_b32_e32 v48, 3, v47
	s_cselect_b64 s[36:37], -1, 0
	v_add3_u32 v27, v27, v0, v1
	s_and_b64 s[38:39], s[4:5], s[0:1]
	v_cmp_neq_f32_e64 s[4:5], 0, v18
	s_xor_b64 s[8:9], vcc, -1
	v_add_u32_e32 v0, s3, v46
	v_or_b32_e32 v2, 0x2000, v48
	v_lshlrev_b32_e32 v3, 8, v46
	s_or_b64 s[40:41], s[4:5], s[8:9]
	s_xor_b64 s[4:5], s[42:43], s[44:45]
	v_mul_lo_u32 v50, s23, v0
	s_mul_i32 s10, s23, s23
	v_cndmask_b32_e64 v0, 0, 1, s[6:7]
	s_mov_b32 s22, 0
	v_add_u32_e32 v49, 0x2000, v3
	v_xor_b32_e32 v28, 0x80000000, v17
	v_xor_b32_e32 v30, 0x80000000, v19
	s_xor_b64 s[42:43], s[4:5], -1
	v_mov_b32_e32 v29, v16
	v_mov_b32_e32 v31, v18
	s_mul_i32 s10, s10, s11
	s_lshl_b32 s20, s23, 5
	v_mov_b32_e32 v33, 0
	v_cmp_ne_u32_e64 s[8:9], 1, v0
	v_add_u32_e32 v51, v2, v3
	v_add_u32_e32 v52, v48, v3
	v_add_u32_e32 v53, 0x400, v48
	v_add_u32_e32 v54, 0x800, v48
	v_add_u32_e32 v55, 0xc00, v48
	v_add_u32_e32 v56, 0x1000, v48
	v_add_u32_e32 v57, 0x1400, v48
	v_add_u32_e32 v58, 0x1800, v48
	s_branch .LBB6_6
.LBB6_5:                                ;   in Loop: Header=BB6_6 Depth=1
	s_or_b64 exec, exec, s[4:5]
	s_add_i32 s22, s22, 32
	s_cmp_lt_i32 s22, s23
	v_add_u32_e32 v50, 32, v50
	s_cbranch_scc0 .LBB6_55
.LBB6_6:                                ; =>This Loop Header: Depth=1
                                        ;     Child Loop BB6_9 Depth 2
                                        ;       Child Loop BB6_12 Depth 3
	v_add_u32_e32 v59, s22, v47
	s_and_b64 vcc, exec, s[8:9]
	v_cmp_gt_i32_e64 s[4:5], s23, v59
	v_mov_b32_e32 v32, v33
	s_cbranch_vccnz .LBB6_45
; %bb.7:                                ;   in Loop: Header=BB6_6 Depth=1
	s_mov_b32 s54, 0
	v_mov_b32_e32 v60, v50
	v_mov_b64_e32 v[34:35], v[32:33]
	s_branch .LBB6_9
.LBB6_8:                                ;   in Loop: Header=BB6_9 Depth=2
	s_add_i32 s54, s54, 1
	s_cmp_eq_u32 s54, s33
	v_add_u32_e32 v60, s10, v60
	s_cbranch_scc1 .LBB6_46
.LBB6_9:                                ;   Parent Loop BB6_6 Depth=1
                                        ; =>  This Loop Header: Depth=2
                                        ;       Child Loop BB6_12 Depth 3
	s_mul_i32 s6, s54, s11
	s_add_i32 s6, s6, s2
	s_ashr_i32 s7, s6, 31
	s_lshl_b64 s[44:45], s[6:7], 2
	s_add_u32 s44, s12, s44
	s_addc_u32 s45, s13, s45
	s_load_dword s7, s[44:45], 0x0
	s_mul_i32 s6, s6, s23
	v_add_u32_e32 v0, s6, v59
	v_mul_lo_u32 v61, v0, s23
	v_add_u32_e32 v63, v47, v60
	s_waitcnt lgkmcnt(0)
	s_sub_i32 s6, s7, s21
	s_cmp_gt_i32 s6, -1
	s_cselect_b64 s[44:45], -1, 0
	s_mul_i32 s6, s6, s23
	v_cndmask_b32_e64 v0, 0, 1, s[44:45]
	v_add_u32_e32 v62, s6, v47
	v_cmp_ne_u32_e64 s[6:7], 1, v0
	s_mov_b32 s55, 0
	s_mov_b32 s56, 0
	s_branch .LBB6_12
.LBB6_10:                               ;   in Loop: Header=BB6_12 Depth=3
	v_mov_b64_e32 v[34:35], v[4:5]
.LBB6_11:                               ;   in Loop: Header=BB6_12 Depth=3
	s_add_i32 s56, s56, 32
	s_add_i32 s55, s55, s20
	s_cmp_ge_i32 s56, s23
	s_barrier
	s_cbranch_scc1 .LBB6_8
.LBB6_12:                               ;   Parent Loop BB6_6 Depth=1
                                        ;     Parent Loop BB6_9 Depth=2
                                        ; =>    This Inner Loop Header: Depth=3
	v_add_u32_e32 v0, s56, v47
	v_cmp_gt_i32_e32 vcc, s23, v0
	s_and_b64 s[46:47], s[0:1], vcc
	s_and_b64 s[48:49], s[46:47], s[44:45]
	s_and_b64 vcc, exec, s[42:43]
	s_cbranch_vccz .LBB6_16
; %bb.13:                               ;   in Loop: Header=BB6_12 Depth=3
	s_mov_b64 s[50:51], 0
	s_mov_b64 s[46:47], 0
                                        ; implicit-def: $vgpr0_vgpr1
	s_and_saveexec_b64 s[52:53], s[48:49]
	s_xor_b64 s[52:53], exec, s[52:53]
; %bb.14:                               ;   in Loop: Header=BB6_12 Depth=3
	v_add_u32_e32 v3, s56, v62
	v_mad_u64_u32 v[0:1], s[58:59], s18, v3, 0
	v_mov_b32_e32 v2, v1
	v_mad_u64_u32 v[2:3], s[58:59], s19, v3, v[2:3]
	v_mov_b32_e32 v1, v2
	s_mov_b64 s[46:47], exec
	v_lshl_add_u64 v[0:1], v[0:1], 3, v[22:23]
; %bb.15:                               ;   in Loop: Header=BB6_12 Depth=3
	s_or_b64 exec, exec, s[52:53]
	s_and_b64 vcc, exec, s[50:51]
	s_cbranch_vccnz .LBB6_17
	s_branch .LBB6_20
.LBB6_16:                               ;   in Loop: Header=BB6_12 Depth=3
	s_mov_b64 s[46:47], 0
                                        ; implicit-def: $vgpr0_vgpr1
	s_cbranch_execz .LBB6_20
.LBB6_17:                               ;   in Loop: Header=BB6_12 Depth=3
                                        ; implicit-def: $vgpr0_vgpr1
	s_and_saveexec_b64 s[50:51], s[48:49]
; %bb.18:                               ;   in Loop: Header=BB6_12 Depth=3
	v_add_u32_e32 v32, s56, v62
	v_lshl_add_u64 v[0:1], v[32:33], 3, v[24:25]
	s_or_b64 s[46:47], s[46:47], exec
; %bb.19:                               ;   in Loop: Header=BB6_12 Depth=3
	s_or_b64 exec, exec, s[50:51]
.LBB6_20:                               ;   in Loop: Header=BB6_12 Depth=3
	v_mov_b32_e32 v2, 0
	v_mov_b32_e32 v3, 0
	s_and_saveexec_b64 s[48:49], s[46:47]
	s_cbranch_execz .LBB6_22
; %bb.21:                               ;   in Loop: Header=BB6_12 Depth=3
	global_load_dwordx2 v[2:3], v[0:1], off
.LBB6_22:                               ;   in Loop: Header=BB6_12 Depth=3
	s_or_b64 exec, exec, s[48:49]
	v_add_u32_e32 v1, s56, v46
	v_cmp_gt_i32_e32 vcc, s23, v1
	s_and_b64 s[46:47], s[4:5], vcc
	s_and_b64 s[48:49], s[46:47], s[44:45]
	s_and_b64 vcc, exec, s[16:17]
	s_waitcnt vmcnt(0)
	ds_write_b64 v51, v[2:3]
	s_cbranch_vccz .LBB6_41
; %bb.23:                               ;   in Loop: Header=BB6_12 Depth=3
	s_mov_b64 s[50:51], 0
	s_mov_b64 s[46:47], 0
                                        ; implicit-def: $vgpr0
	s_and_saveexec_b64 s[52:53], s[48:49]
	s_xor_b64 s[52:53], exec, s[52:53]
; %bb.24:                               ;   in Loop: Header=BB6_12 Depth=3
	s_mov_b64 s[46:47], exec
	v_add_u32_e32 v0, s55, v63
; %bb.25:                               ;   in Loop: Header=BB6_12 Depth=3
	s_or_b64 exec, exec, s[52:53]
	s_and_b64 vcc, exec, s[50:51]
	s_cbranch_vccnz .LBB6_42
.LBB6_26:                               ;   in Loop: Header=BB6_12 Depth=3
	v_mov_b32_e32 v2, 0
	v_mov_b32_e32 v3, 0
	s_and_saveexec_b64 s[48:49], s[46:47]
	s_cbranch_execz .LBB6_28
.LBB6_27:                               ;   in Loop: Header=BB6_12 Depth=3
	v_ashrrev_i32_e32 v1, 31, v0
	v_lshl_add_u64 v[0:1], v[0:1], 3, s[14:15]
	global_load_dwordx2 v[2:3], v[0:1], off
.LBB6_28:                               ;   in Loop: Header=BB6_12 Depth=3
	s_or_b64 exec, exec, s[48:49]
	s_and_b64 vcc, exec, s[6:7]
	s_waitcnt vmcnt(0)
	ds_write_b64 v52, v[2:3]
	s_waitcnt lgkmcnt(0)
	s_barrier
	s_cbranch_vccnz .LBB6_11
; %bb.29:                               ;   in Loop: Header=BB6_12 Depth=3
	s_mov_b64 s[46:47], -1
	s_and_b64 vcc, exec, s[28:29]
                                        ; implicit-def: $vgpr4_vgpr5
	s_cbranch_vccz .LBB6_39
; %bb.30:                               ;   in Loop: Header=BB6_12 Depth=3
	s_and_b64 vcc, exec, s[30:31]
                                        ; implicit-def: $vgpr4_vgpr5
	s_cbranch_vccz .LBB6_36
; %bb.31:                               ;   in Loop: Header=BB6_12 Depth=3
	ds_read2_b64 v[0:3], v48 offset1:32
	ds_read_b64 v[36:37], v48 offset:512
	s_andn2_b64 vcc, exec, s[34:35]
                                        ; implicit-def: $vgpr4_vgpr5
	s_waitcnt lgkmcnt(1)
	v_xor_b32_e32 v40, 0x80000000, v3
	s_waitcnt lgkmcnt(0)
	v_xor_b32_e32 v38, 0x80000000, v37
	s_cbranch_vccnz .LBB6_33
; %bb.32:                               ;   in Loop: Header=BB6_12 Depth=3
	ds_read_b128 v[12:15], v49
	ds_read_b128 v[8:11], v49 offset:16
	ds_read_b128 v[4:7], v49 offset:32
	v_xor_b32_e32 v42, 0x80000000, v1
	v_mov_b32_e32 v43, v0
	s_waitcnt lgkmcnt(2)
	v_pk_fma_f32 v[64:65], v[0:1], v[12:13], v[34:35] op_sel_hi:[1,0,1]
	v_mov_b32_e32 v32, v15
	v_pk_fma_f32 v[12:13], v[42:43], v[12:13], v[64:65] op_sel:[0,1,0]
	v_mov_b32_e32 v41, v2
	v_pk_fma_f32 v[42:43], v[2:3], v[14:15], v[12:13] op_sel_hi:[1,0,1]
	ds_read2_b64 v[12:15], v48 offset0:96 offset1:128
	v_pk_fma_f32 v[42:43], v[40:41], v[32:33], v[42:43] op_sel_hi:[1,0,1]
	v_mov_b32_e32 v39, v36
	s_waitcnt lgkmcnt(2)
	v_pk_fma_f32 v[42:43], v[36:37], v[8:9], v[42:43] op_sel_hi:[1,0,1]
	ds_read_b64 v[44:45], v48 offset:7936
	v_pk_fma_f32 v[8:9], v[38:39], v[8:9], v[42:43] op_sel:[0,1,0]
	s_waitcnt lgkmcnt(1)
	v_xor_b32_e32 v42, 0x80000000, v13
	v_pk_fma_f32 v[8:9], v[12:13], v[10:11], v[8:9] op_sel_hi:[1,0,1]
	v_mov_b32_e32 v43, v12
	v_mov_b32_e32 v10, v11
	v_pk_fma_f32 v[8:9], v[42:43], v[10:11], v[8:9] op_sel_hi:[1,0,1]
	v_xor_b32_e32 v12, 0x80000000, v15
	v_pk_fma_f32 v[42:43], v[14:15], v[4:5], v[8:9] op_sel_hi:[1,0,1]
	ds_read2_b64 v[8:11], v48 offset0:160 offset1:192
	v_mov_b32_e32 v13, v14
	v_pk_fma_f32 v[4:5], v[12:13], v[4:5], v[42:43] op_sel:[0,1,0]
	ds_read_b128 v[12:15], v49 offset:48
	ds_read_b128 v[64:67], v49 offset:64
	ds_read_b128 v[68:71], v49 offset:80
	s_mov_b64 s[46:47], 0
	s_waitcnt lgkmcnt(3)
	v_xor_b32_e32 v42, 0x80000000, v9
	v_pk_fma_f32 v[4:5], v[8:9], v[6:7], v[4:5] op_sel_hi:[1,0,1]
	v_mov_b32_e32 v43, v8
	v_mov_b32_e32 v6, v7
	v_pk_fma_f32 v[8:9], v[42:43], v[6:7], v[4:5] op_sel_hi:[1,0,1]
	ds_read2_b64 v[4:7], v53 offset0:96 offset1:128
	v_xor_b32_e32 v42, 0x80000000, v11
	s_waitcnt lgkmcnt(3)
	v_pk_fma_f32 v[8:9], v[10:11], v[12:13], v[8:9] op_sel_hi:[1,0,1]
	v_mov_b32_e32 v43, v10
	v_pk_fma_f32 v[8:9], v[42:43], v[12:13], v[8:9] op_sel:[0,1,0]
	s_waitcnt lgkmcnt(0)
	v_xor_b32_e32 v10, 0x80000000, v5
	v_pk_fma_f32 v[8:9], v[4:5], v[14:15], v[8:9] op_sel_hi:[1,0,1]
	v_mov_b32_e32 v11, v4
	v_mov_b32_e32 v4, v15
	v_pk_fma_f32 v[4:5], v[10:11], v[4:5], v[8:9] op_sel_hi:[1,0,1]
	ds_read2_b64 v[8:11], v54 offset0:32 offset1:64
	v_xor_b32_e32 v12, 0x80000000, v7
	v_pk_fma_f32 v[4:5], v[6:7], v[64:65], v[4:5] op_sel_hi:[1,0,1]
	v_mov_b32_e32 v13, v6
	v_pk_fma_f32 v[4:5], v[12:13], v[64:65], v[4:5] op_sel:[0,1,0]
	s_waitcnt lgkmcnt(0)
	v_xor_b32_e32 v6, 0x80000000, v9
	v_pk_fma_f32 v[4:5], v[8:9], v[66:67], v[4:5] op_sel_hi:[1,0,1]
	v_mov_b32_e32 v7, v8
	v_mov_b32_e32 v8, v67
	v_pk_fma_f32 v[8:9], v[6:7], v[8:9], v[4:5] op_sel_hi:[1,0,1]
	ds_read_b128 v[4:7], v49 offset:96
	ds_read2_b64 v[12:15], v54 offset0:96 offset1:128
	v_xor_b32_e32 v42, 0x80000000, v11
	v_pk_fma_f32 v[8:9], v[10:11], v[68:69], v[8:9] op_sel_hi:[1,0,1]
	v_mov_b32_e32 v43, v10
	v_pk_fma_f32 v[8:9], v[42:43], v[68:69], v[8:9] op_sel:[0,1,0]
	s_waitcnt lgkmcnt(0)
	v_xor_b32_e32 v10, 0x80000000, v13
	v_pk_fma_f32 v[8:9], v[12:13], v[70:71], v[8:9] op_sel_hi:[1,0,1]
	v_mov_b32_e32 v11, v12
	v_mov_b32_e32 v12, v71
	v_pk_fma_f32 v[12:13], v[10:11], v[12:13], v[8:9] op_sel_hi:[1,0,1]
	ds_read2_b64 v[8:11], v54 offset0:160 offset1:192
	ds_read_b128 v[64:67], v49 offset:112
	v_xor_b32_e32 v42, 0x80000000, v15
	v_pk_fma_f32 v[12:13], v[14:15], v[4:5], v[12:13] op_sel_hi:[1,0,1]
	v_mov_b32_e32 v43, v14
	v_pk_fma_f32 v[4:5], v[42:43], v[4:5], v[12:13] op_sel:[0,1,0]
	s_waitcnt lgkmcnt(1)
	v_xor_b32_e32 v12, 0x80000000, v9
	v_pk_fma_f32 v[4:5], v[8:9], v[6:7], v[4:5] op_sel_hi:[1,0,1]
	v_mov_b32_e32 v13, v8
	v_mov_b32_e32 v6, v7
	v_pk_fma_f32 v[8:9], v[12:13], v[6:7], v[4:5] op_sel_hi:[1,0,1]
	ds_read2_b64 v[4:7], v55 offset0:96 offset1:128
	ds_read_b128 v[12:15], v49 offset:128
	v_xor_b32_e32 v42, 0x80000000, v11
	s_waitcnt lgkmcnt(2)
	v_pk_fma_f32 v[8:9], v[10:11], v[64:65], v[8:9] op_sel_hi:[1,0,1]
	v_mov_b32_e32 v43, v10
	v_pk_fma_f32 v[8:9], v[42:43], v[64:65], v[8:9] op_sel:[0,1,0]
	s_waitcnt lgkmcnt(1)
	v_xor_b32_e32 v10, 0x80000000, v5
	v_pk_fma_f32 v[8:9], v[4:5], v[66:67], v[8:9] op_sel_hi:[1,0,1]
	v_mov_b32_e32 v11, v4
	v_mov_b32_e32 v4, v67
	v_pk_fma_f32 v[4:5], v[10:11], v[4:5], v[8:9] op_sel_hi:[1,0,1]
	ds_read_b128 v[8:11], v49 offset:144
	ds_read_b128 v[64:67], v49 offset:160
	ds_read2_b64 v[68:71], v56 offset0:32 offset1:64
	v_xor_b32_e32 v42, 0x80000000, v7
	s_waitcnt lgkmcnt(3)
	v_pk_fma_f32 v[4:5], v[6:7], v[12:13], v[4:5] op_sel_hi:[1,0,1]
	v_mov_b32_e32 v43, v6
	v_pk_fma_f32 v[4:5], v[42:43], v[12:13], v[4:5] op_sel:[0,1,0]
	s_waitcnt lgkmcnt(0)
	v_xor_b32_e32 v6, 0x80000000, v69
	v_pk_fma_f32 v[4:5], v[68:69], v[14:15], v[4:5] op_sel_hi:[1,0,1]
	v_mov_b32_e32 v7, v68
	v_mov_b32_e32 v12, v15
	v_pk_fma_f32 v[12:13], v[6:7], v[12:13], v[4:5] op_sel_hi:[1,0,1]
	ds_read2_b64 v[4:7], v56 offset0:96 offset1:128
	v_xor_b32_e32 v14, 0x80000000, v71
	v_pk_fma_f32 v[12:13], v[70:71], v[8:9], v[12:13] op_sel_hi:[1,0,1]
	v_mov_b32_e32 v15, v70
	v_pk_fma_f32 v[8:9], v[14:15], v[8:9], v[12:13] op_sel:[0,1,0]
	s_waitcnt lgkmcnt(0)
	v_xor_b32_e32 v12, 0x80000000, v5
	v_pk_fma_f32 v[8:9], v[4:5], v[10:11], v[8:9] op_sel_hi:[1,0,1]
	v_mov_b32_e32 v13, v4
	v_mov_b32_e32 v4, v11
	v_pk_fma_f32 v[4:5], v[12:13], v[4:5], v[8:9] op_sel_hi:[1,0,1]
	ds_read2_b64 v[8:11], v56 offset0:160 offset1:192
	v_xor_b32_e32 v12, 0x80000000, v7
	v_pk_fma_f32 v[4:5], v[6:7], v[64:65], v[4:5] op_sel_hi:[1,0,1]
	v_mov_b32_e32 v13, v6
	v_pk_fma_f32 v[4:5], v[12:13], v[64:65], v[4:5] op_sel:[0,1,0]
	s_waitcnt lgkmcnt(0)
	v_xor_b32_e32 v42, 0x80000000, v9
	v_pk_fma_f32 v[64:65], v[8:9], v[66:67], v[4:5] op_sel_hi:[1,0,1]
	v_mov_b32_e32 v43, v8
	v_mov_b32_e32 v8, v67
	ds_read_b128 v[4:7], v49 offset:176
	ds_read_b128 v[12:15], v49 offset:192
	;; [unrolled: 1-line block ×3, first 2 shown]
	v_pk_fma_f32 v[8:9], v[42:43], v[8:9], v[64:65] op_sel_hi:[1,0,1]
	ds_read2_b64 v[64:67], v57 offset0:96 offset1:128
	v_xor_b32_e32 v42, 0x80000000, v11
	s_waitcnt lgkmcnt(3)
	v_pk_fma_f32 v[8:9], v[10:11], v[4:5], v[8:9] op_sel_hi:[1,0,1]
	v_mov_b32_e32 v43, v10
	v_pk_fma_f32 v[4:5], v[42:43], v[4:5], v[8:9] op_sel:[0,1,0]
	s_waitcnt lgkmcnt(0)
	v_xor_b32_e32 v8, 0x80000000, v65
	v_pk_fma_f32 v[4:5], v[64:65], v[6:7], v[4:5] op_sel_hi:[1,0,1]
	v_mov_b32_e32 v9, v64
	v_mov_b32_e32 v6, v7
	v_pk_fma_f32 v[8:9], v[8:9], v[6:7], v[4:5] op_sel_hi:[1,0,1]
	ds_read2_b64 v[4:7], v58 offset0:32 offset1:64
	v_xor_b32_e32 v10, 0x80000000, v67
	v_pk_fma_f32 v[8:9], v[66:67], v[12:13], v[8:9] op_sel_hi:[1,0,1]
	v_mov_b32_e32 v11, v66
	v_pk_fma_f32 v[8:9], v[10:11], v[12:13], v[8:9] op_sel:[0,1,0]
	s_waitcnt lgkmcnt(0)
	v_xor_b32_e32 v10, 0x80000000, v5
	v_pk_fma_f32 v[8:9], v[4:5], v[14:15], v[8:9] op_sel_hi:[1,0,1]
	v_mov_b32_e32 v11, v4
	v_mov_b32_e32 v4, v15
	v_pk_fma_f32 v[4:5], v[10:11], v[4:5], v[8:9] op_sel_hi:[1,0,1]
	ds_read_b128 v[8:11], v49 offset:224
	ds_read2_b64 v[12:15], v58 offset0:96 offset1:128
	v_xor_b32_e32 v42, 0x80000000, v7
	v_pk_fma_f32 v[4:5], v[6:7], v[68:69], v[4:5] op_sel_hi:[1,0,1]
	v_mov_b32_e32 v43, v6
	v_pk_fma_f32 v[42:43], v[42:43], v[68:69], v[4:5] op_sel:[0,1,0]
	s_waitcnt lgkmcnt(0)
	v_xor_b32_e32 v64, 0x80000000, v13
	v_pk_fma_f32 v[42:43], v[12:13], v[70:71], v[42:43] op_sel_hi:[1,0,1]
	v_mov_b32_e32 v65, v12
	v_mov_b32_e32 v12, v71
	v_pk_fma_f32 v[12:13], v[64:65], v[12:13], v[42:43] op_sel_hi:[1,0,1]
	ds_read2_b64 v[64:67], v58 offset0:160 offset1:192
	ds_read_b128 v[4:7], v49 offset:240
	v_xor_b32_e32 v42, 0x80000000, v15
	v_pk_fma_f32 v[12:13], v[14:15], v[8:9], v[12:13] op_sel_hi:[1,0,1]
	v_mov_b32_e32 v43, v14
	v_pk_fma_f32 v[8:9], v[42:43], v[8:9], v[12:13] op_sel:[0,1,0]
	s_waitcnt lgkmcnt(1)
	v_xor_b32_e32 v12, 0x80000000, v65
	v_pk_fma_f32 v[8:9], v[64:65], v[10:11], v[8:9] op_sel_hi:[1,0,1]
	v_mov_b32_e32 v13, v64
	v_mov_b32_e32 v10, v11
	v_pk_fma_f32 v[8:9], v[12:13], v[10:11], v[8:9] op_sel_hi:[1,0,1]
	v_xor_b32_e32 v10, 0x80000000, v67
	s_waitcnt lgkmcnt(0)
	v_pk_fma_f32 v[8:9], v[66:67], v[4:5], v[8:9] op_sel_hi:[1,0,1]
	v_mov_b32_e32 v11, v66
	v_pk_fma_f32 v[4:5], v[10:11], v[4:5], v[8:9] op_sel:[0,1,0]
	v_xor_b32_e32 v8, 0x80000000, v45
	v_pk_fma_f32 v[4:5], v[44:45], v[6:7], v[4:5] op_sel_hi:[1,0,1]
	v_mov_b32_e32 v9, v44
	v_mov_b32_e32 v6, v7
	v_pk_fma_f32 v[4:5], v[8:9], v[6:7], v[4:5] op_sel_hi:[1,0,1]
.LBB6_33:                               ;   in Loop: Header=BB6_12 Depth=3
	s_andn2_b64 vcc, exec, s[46:47]
	s_cbranch_vccnz .LBB6_35
; %bb.34:                               ;   in Loop: Header=BB6_12 Depth=3
	ds_read_b128 v[4:7], v49
	ds_read_b128 v[8:11], v49 offset:16
	ds_read_b128 v[12:15], v49 offset:32
	;; [unrolled: 1-line block ×3, first 2 shown]
	v_pk_add_f32 v[64:65], v[0:1], 0 neg_lo:[1,1] neg_hi:[1,1]
	v_mov_b32_e32 v41, v2
	v_mov_b32_e32 v64, v0
	s_waitcnt lgkmcnt(3)
	v_pk_fma_f32 v[64:65], v[64:65], v[4:5], v[34:35] op_sel_hi:[1,0,1]
	v_mov_b32_e32 v39, v36
	v_pk_fma_f32 v[0:1], v[0:1], v[4:5], v[64:65] op_sel:[0,1,1] op_sel_hi:[1,1,0]
	v_mov_b32_e32 v4, v7
	v_pk_fma_f32 v[0:1], v[40:41], v[6:7], v[0:1] op_sel_hi:[1,0,1]
	s_waitcnt lgkmcnt(0)
	v_mov_b32_e32 v32, v45
	v_pk_fma_f32 v[0:1], v[2:3], v[4:5], v[0:1] op_sel_hi:[1,0,1]
	s_nop 0
	v_pk_fma_f32 v[0:1], v[38:39], v[8:9], v[0:1] op_sel_hi:[1,0,1]
	s_nop 0
	v_pk_fma_f32 v[4:5], v[36:37], v[8:9], v[0:1] op_sel:[0,1,0]
	ds_read2_b64 v[0:3], v48 offset0:96 offset1:128
	s_waitcnt lgkmcnt(0)
	v_xor_b32_e32 v6, 0x80000000, v1
	v_mov_b32_e32 v7, v0
	v_pk_fma_f32 v[4:5], v[6:7], v[10:11], v[4:5] op_sel_hi:[1,0,1]
	v_mov_b32_e32 v6, v11
	v_pk_fma_f32 v[0:1], v[0:1], v[6:7], v[4:5] op_sel_hi:[1,0,1]
	v_xor_b32_e32 v4, 0x80000000, v3
	v_mov_b32_e32 v5, v2
	v_pk_fma_f32 v[0:1], v[4:5], v[12:13], v[0:1] op_sel_hi:[1,0,1]
	s_nop 0
	v_pk_fma_f32 v[12:13], v[2:3], v[12:13], v[0:1] op_sel:[0,1,0]
	ds_read_b128 v[0:3], v49 offset:64
	ds_read_b128 v[4:7], v49 offset:80
	;; [unrolled: 1-line block ×4, first 2 shown]
	ds_read2_b64 v[64:67], v54 offset0:32 offset1:64
	ds_read2_b64 v[68:71], v48 offset0:160 offset1:192
	s_waitcnt lgkmcnt(1)
	v_xor_b32_e32 v40, 0x80000000, v67
	s_waitcnt lgkmcnt(0)
	v_xor_b32_e32 v72, 0x80000000, v69
	v_mov_b32_e32 v73, v68
	v_pk_fma_f32 v[12:13], v[72:73], v[14:15], v[12:13] op_sel_hi:[1,0,1]
	v_mov_b32_e32 v14, v15
	v_pk_fma_f32 v[12:13], v[68:69], v[14:15], v[12:13] op_sel_hi:[1,0,1]
	v_xor_b32_e32 v14, 0x80000000, v71
	v_mov_b32_e32 v15, v70
	v_pk_fma_f32 v[12:13], v[14:15], v[42:43], v[12:13] op_sel_hi:[1,0,1]
	v_mov_b32_e32 v41, v66
	v_pk_fma_f32 v[42:43], v[70:71], v[42:43], v[12:13] op_sel:[0,1,0]
	ds_read2_b64 v[12:15], v53 offset0:96 offset1:128
	s_waitcnt lgkmcnt(0)
	v_xor_b32_e32 v68, 0x80000000, v13
	v_mov_b32_e32 v69, v12
	v_pk_fma_f32 v[42:43], v[68:69], v[44:45], v[42:43] op_sel_hi:[1,0,1]
	s_nop 0
	v_pk_fma_f32 v[12:13], v[12:13], v[32:33], v[42:43] op_sel_hi:[1,0,1]
	v_xor_b32_e32 v42, 0x80000000, v15
	v_mov_b32_e32 v43, v14
	v_pk_fma_f32 v[12:13], v[42:43], v[0:1], v[12:13] op_sel_hi:[1,0,1]
	s_nop 0
	v_pk_fma_f32 v[0:1], v[14:15], v[0:1], v[12:13] op_sel:[0,1,0]
	v_xor_b32_e32 v12, 0x80000000, v65
	v_mov_b32_e32 v13, v64
	v_pk_fma_f32 v[0:1], v[12:13], v[2:3], v[0:1] op_sel_hi:[1,0,1]
	v_mov_b32_e32 v2, v3
	v_pk_fma_f32 v[0:1], v[64:65], v[2:3], v[0:1] op_sel_hi:[1,0,1]
	s_nop 0
	v_pk_fma_f32 v[0:1], v[40:41], v[4:5], v[0:1] op_sel_hi:[1,0,1]
	s_nop 0
	v_pk_fma_f32 v[4:5], v[66:67], v[4:5], v[0:1] op_sel:[0,1,0]
	ds_read2_b64 v[0:3], v54 offset0:96 offset1:128
	s_waitcnt lgkmcnt(0)
	v_xor_b32_e32 v12, 0x80000000, v1
	v_mov_b32_e32 v13, v0
	v_pk_fma_f32 v[4:5], v[12:13], v[6:7], v[4:5] op_sel_hi:[1,0,1]
	v_mov_b32_e32 v6, v7
	v_pk_fma_f32 v[0:1], v[0:1], v[6:7], v[4:5] op_sel_hi:[1,0,1]
	v_xor_b32_e32 v4, 0x80000000, v3
	v_mov_b32_e32 v5, v2
	v_pk_fma_f32 v[0:1], v[4:5], v[8:9], v[0:1] op_sel_hi:[1,0,1]
	s_nop 0
	v_pk_fma_f32 v[4:5], v[2:3], v[8:9], v[0:1] op_sel:[0,1,0]
	ds_read2_b64 v[0:3], v54 offset0:160 offset1:192
	s_waitcnt lgkmcnt(0)
	v_xor_b32_e32 v6, 0x80000000, v1
	v_mov_b32_e32 v7, v0
	v_pk_fma_f32 v[4:5], v[6:7], v[10:11], v[4:5] op_sel_hi:[1,0,1]
	v_mov_b32_e32 v6, v11
	v_pk_fma_f32 v[0:1], v[0:1], v[6:7], v[4:5] op_sel_hi:[1,0,1]
	v_xor_b32_e32 v4, 0x80000000, v3
	v_mov_b32_e32 v5, v2
	;; [unrolled: 12-line block ×3, first 2 shown]
	ds_read_b128 v[4:7], v49 offset:128
	ds_read_b128 v[8:11], v49 offset:144
	;; [unrolled: 1-line block ×6, first 2 shown]
	ds_read2_b64 v[68:71], v56 offset0:160 offset1:192
	s_waitcnt lgkmcnt(6)
	v_pk_fma_f32 v[0:1], v[72:73], v[4:5], v[0:1] op_sel_hi:[1,0,1]
	s_waitcnt lgkmcnt(0)
	v_xor_b32_e32 v44, 0x80000000, v69
	v_pk_fma_f32 v[4:5], v[2:3], v[4:5], v[0:1] op_sel:[0,1,0]
	ds_read2_b64 v[0:3], v56 offset0:32 offset1:64
	v_mov_b32_e32 v45, v68
	s_waitcnt lgkmcnt(0)
	v_xor_b32_e32 v72, 0x80000000, v1
	v_mov_b32_e32 v73, v0
	v_pk_fma_f32 v[4:5], v[72:73], v[6:7], v[4:5] op_sel_hi:[1,0,1]
	v_mov_b32_e32 v6, v7
	v_pk_fma_f32 v[0:1], v[0:1], v[6:7], v[4:5] op_sel_hi:[1,0,1]
	v_xor_b32_e32 v4, 0x80000000, v3
	v_mov_b32_e32 v5, v2
	v_pk_fma_f32 v[0:1], v[4:5], v[8:9], v[0:1] op_sel_hi:[1,0,1]
	s_nop 0
	v_pk_fma_f32 v[4:5], v[2:3], v[8:9], v[0:1] op_sel:[0,1,0]
	ds_read2_b64 v[0:3], v56 offset0:96 offset1:128
	s_waitcnt lgkmcnt(0)
	v_xor_b32_e32 v6, 0x80000000, v1
	v_mov_b32_e32 v7, v0
	v_pk_fma_f32 v[4:5], v[6:7], v[10:11], v[4:5] op_sel_hi:[1,0,1]
	v_mov_b32_e32 v6, v11
	v_pk_fma_f32 v[0:1], v[0:1], v[6:7], v[4:5] op_sel_hi:[1,0,1]
	v_xor_b32_e32 v4, 0x80000000, v3
	v_mov_b32_e32 v5, v2
	v_pk_fma_f32 v[0:1], v[4:5], v[12:13], v[0:1] op_sel_hi:[1,0,1]
	s_nop 0
	v_pk_fma_f32 v[0:1], v[2:3], v[12:13], v[0:1] op_sel:[0,1,0]
	v_mov_b32_e32 v2, v15
	v_pk_fma_f32 v[0:1], v[44:45], v[14:15], v[0:1] op_sel_hi:[1,0,1]
	s_nop 0
	v_pk_fma_f32 v[0:1], v[68:69], v[2:3], v[0:1] op_sel_hi:[1,0,1]
	v_xor_b32_e32 v3, 0x80000000, v71
	v_mov_b32_e32 v2, v70
	v_pk_fma_f32 v[0:1], v[2:3], v[36:37], v[0:1] op_sel:[0,0,1] op_sel_hi:[1,0,0]
	s_nop 0
	v_pk_fma_f32 v[4:5], v[70:71], v[36:37], v[0:1] op_sel:[1,1,0] op_sel_hi:[0,1,1]
	ds_read2_b64 v[0:3], v57 offset0:96 offset1:128
	s_waitcnt lgkmcnt(0)
	v_xor_b32_e32 v7, 0x80000000, v1
	v_mov_b32_e32 v6, v0
	v_pk_fma_f32 v[4:5], v[6:7], v[38:39], v[4:5] op_sel_hi:[1,0,1]
	v_mov_b32_e32 v6, v39
	v_pk_fma_f32 v[0:1], v[0:1], v[6:7], v[4:5] op_sel:[1,0,0] op_sel_hi:[0,0,1]
	v_xor_b32_e32 v5, 0x80000000, v3
	v_mov_b32_e32 v4, v2
	v_pk_fma_f32 v[0:1], v[4:5], v[40:41], v[0:1] op_sel_hi:[1,0,1]
	s_nop 0
	v_pk_fma_f32 v[4:5], v[2:3], v[40:41], v[0:1] op_sel:[1,1,0] op_sel_hi:[0,1,1]
	ds_read2_b64 v[0:3], v58 offset0:32 offset1:64
	s_waitcnt lgkmcnt(0)
	v_xor_b32_e32 v7, 0x80000000, v1
	v_mov_b32_e32 v6, v0
	v_pk_fma_f32 v[4:5], v[6:7], v[42:43], v[4:5] op_sel_hi:[1,0,1]
	v_mov_b32_e32 v6, v43
	v_pk_fma_f32 v[0:1], v[0:1], v[6:7], v[4:5] op_sel:[1,0,0] op_sel_hi:[0,0,1]
	v_xor_b32_e32 v5, 0x80000000, v3
	v_mov_b32_e32 v4, v2
	v_pk_fma_f32 v[0:1], v[4:5], v[64:65], v[0:1] op_sel_hi:[1,0,1]
	s_nop 0
	v_pk_fma_f32 v[12:13], v[2:3], v[64:65], v[0:1] op_sel:[1,1,0] op_sel_hi:[0,1,1]
	ds_read_b128 v[4:7], v49 offset:224
	ds_read_b128 v[0:3], v49 offset:240
	ds_read2_b64 v[8:11], v58 offset0:96 offset1:128
	s_waitcnt lgkmcnt(0)
	v_xor_b32_e32 v15, 0x80000000, v9
	v_mov_b32_e32 v14, v8
	v_pk_fma_f32 v[12:13], v[14:15], v[66:67], v[12:13] op_sel_hi:[1,0,1]
	v_mov_b32_e32 v14, v67
	v_pk_fma_f32 v[8:9], v[8:9], v[14:15], v[12:13] op_sel:[1,0,0] op_sel_hi:[0,0,1]
	v_xor_b32_e32 v13, 0x80000000, v11
	v_mov_b32_e32 v12, v10
	v_pk_fma_f32 v[8:9], v[12:13], v[4:5], v[8:9] op_sel_hi:[1,0,1]
	s_nop 0
	v_pk_fma_f32 v[4:5], v[10:11], v[4:5], v[8:9] op_sel:[1,1,0] op_sel_hi:[0,1,1]
	ds_read2_b64 v[8:11], v58 offset0:160 offset1:192
	s_waitcnt lgkmcnt(0)
	v_xor_b32_e32 v13, 0x80000000, v9
	v_mov_b32_e32 v12, v8
	v_pk_fma_f32 v[4:5], v[12:13], v[6:7], v[4:5] op_sel_hi:[1,0,1]
	v_mov_b32_e32 v6, v7
	v_pk_fma_f32 v[4:5], v[8:9], v[6:7], v[4:5] op_sel:[1,0,0] op_sel_hi:[0,0,1]
	v_xor_b32_e32 v7, 0x80000000, v11
	v_mov_b32_e32 v6, v10
	v_pk_fma_f32 v[4:5], v[6:7], v[0:1], v[4:5] op_sel_hi:[1,0,1]
	s_nop 0
	v_pk_fma_f32 v[0:1], v[10:11], v[0:1], v[4:5] op_sel:[1,1,0] op_sel_hi:[0,1,1]
	ds_read_b64 v[4:5], v48 offset:7936
	s_waitcnt lgkmcnt(0)
	v_xor_b32_e32 v7, 0x80000000, v5
	v_mov_b32_e32 v6, v4
	v_pk_fma_f32 v[0:1], v[6:7], v[2:3], v[0:1] op_sel_hi:[1,0,1]
	v_mov_b32_e32 v2, v3
	v_pk_fma_f32 v[4:5], v[4:5], v[2:3], v[0:1] op_sel:[1,0,0] op_sel_hi:[0,0,1]
.LBB6_35:                               ;   in Loop: Header=BB6_12 Depth=3
	s_mov_b64 s[46:47], 0
.LBB6_36:                               ;   in Loop: Header=BB6_12 Depth=3
	s_andn2_b64 vcc, exec, s[46:47]
	s_cbranch_vccnz .LBB6_38
; %bb.37:                               ;   in Loop: Header=BB6_12 Depth=3
	ds_read2_b64 v[0:3], v48 offset1:32
	ds_read_b128 v[4:7], v49
	ds_read_b128 v[8:11], v49 offset:16
	ds_read_b128 v[12:15], v49 offset:32
	;; [unrolled: 1-line block ×3, first 2 shown]
	ds_read2_b64 v[40:43], v48 offset0:64 offset1:96
	s_waitcnt lgkmcnt(4)
	v_pk_fma_f32 v[44:45], v[0:1], v[4:5], v[34:35] op_sel_hi:[1,0,1]
	s_nop 0
	v_pk_fma_f32 v[0:1], v[0:1], v[4:5], v[44:45] op_sel:[1,1,0] op_sel_hi:[0,1,1] neg_hi:[0,1,0]
	v_pk_fma_f32 v[0:1], v[2:3], v[6:7], v[0:1] op_sel_hi:[1,0,1]
	v_mov_b32_e32 v4, v7
	v_pk_fma_f32 v[0:1], v[2:3], v[4:5], v[0:1] op_sel:[1,0,0] op_sel_hi:[0,0,1] neg_hi:[0,1,0]
	s_waitcnt lgkmcnt(0)
	v_pk_fma_f32 v[4:5], v[40:41], v[8:9], v[0:1] op_sel_hi:[1,0,1]
	ds_read2_b64 v[0:3], v48 offset0:128 offset1:160
	v_pk_fma_f32 v[4:5], v[40:41], v[8:9], v[4:5] op_sel:[1,1,0] op_sel_hi:[0,1,1] neg_hi:[0,1,0]
	v_pk_fma_f32 v[4:5], v[42:43], v[10:11], v[4:5] op_sel_hi:[1,0,1]
	v_mov_b32_e32 v6, v11
	v_pk_fma_f32 v[4:5], v[42:43], v[6:7], v[4:5] op_sel:[1,0,0] op_sel_hi:[0,0,1] neg_hi:[0,1,0]
	s_waitcnt lgkmcnt(0)
	v_pk_fma_f32 v[4:5], v[0:1], v[12:13], v[4:5] op_sel_hi:[1,0,1]
	s_nop 0
	v_pk_fma_f32 v[0:1], v[0:1], v[12:13], v[4:5] op_sel:[1,1,0] op_sel_hi:[0,1,1] neg_hi:[0,1,0]
	ds_read_b128 v[4:7], v49 offset:64
	ds_read_b128 v[8:11], v49 offset:80
	;; [unrolled: 1-line block ×4, first 2 shown]
	ds_read2_b64 v[68:71], v48 offset0:192 offset1:224
	ds_read2_b64 v[72:75], v54 offset0:64 offset1:96
	v_pk_fma_f32 v[0:1], v[2:3], v[14:15], v[0:1] op_sel_hi:[1,0,1]
	v_mov_b32_e32 v12, v15
	v_pk_fma_f32 v[0:1], v[2:3], v[12:13], v[0:1] op_sel:[0,0,1] op_sel_hi:[1,0,0] neg_lo:[0,1,0]
	v_mov_b32_e32 v14, v39
	s_waitcnt lgkmcnt(1)
	v_pk_fma_f32 v[12:13], v[68:69], v[36:37], v[0:1] op_sel:[1,0,0] op_sel_hi:[0,0,1]
	ds_read2_b64 v[0:3], v54 offset1:32
	v_pk_fma_f32 v[12:13], v[68:69], v[36:37], v[12:13] op_sel:[0,1,0] neg_lo:[0,1,0]
	s_nop 0
	v_pk_fma_f32 v[12:13], v[70:71], v[38:39], v[12:13] op_sel:[1,0,0] op_sel_hi:[0,0,1]
	v_pk_fma_f32 v[12:13], v[70:71], v[14:15], v[12:13] op_sel_hi:[1,0,1] neg_lo:[0,1,0]
	s_waitcnt lgkmcnt(0)
	v_pk_fma_f32 v[12:13], v[0:1], v[4:5], v[12:13] op_sel:[1,0,0] op_sel_hi:[0,0,1]
	v_pk_fma_f32 v[0:1], v[0:1], v[4:5], v[12:13] op_sel:[0,1,0] neg_lo:[0,1,0]
	v_mov_b32_e32 v4, v7
	v_pk_fma_f32 v[0:1], v[2:3], v[6:7], v[0:1] op_sel:[1,0,0] op_sel_hi:[0,0,1]
	v_pk_fma_f32 v[0:1], v[2:3], v[4:5], v[0:1] op_sel_hi:[1,0,1] neg_lo:[0,1,0]
	v_mov_b32_e32 v6, v11
	v_pk_fma_f32 v[4:5], v[72:73], v[8:9], v[0:1] op_sel:[1,0,0] op_sel_hi:[0,0,1]
	ds_read2_b64 v[0:3], v54 offset0:128 offset1:160
	v_pk_fma_f32 v[4:5], v[72:73], v[8:9], v[4:5] op_sel:[0,1,0] neg_lo:[0,1,0]
	s_nop 0
	v_pk_fma_f32 v[4:5], v[74:75], v[10:11], v[4:5] op_sel:[0,0,1] op_sel_hi:[1,0,0]
	s_nop 0
	v_pk_fma_f32 v[4:5], v[74:75], v[6:7], v[4:5] op_sel:[1,0,0] op_sel_hi:[0,0,1] neg_hi:[0,1,0]
	s_waitcnt lgkmcnt(0)
	v_pk_fma_f32 v[8:9], v[0:1], v[40:41], v[4:5] op_sel_hi:[1,0,1]
	ds_read2_b64 v[4:7], v54 offset0:192 offset1:224
	v_pk_fma_f32 v[0:1], v[0:1], v[40:41], v[8:9] op_sel:[1,1,0] op_sel_hi:[0,1,1] neg_hi:[0,1,0]
	v_pk_fma_f32 v[0:1], v[2:3], v[42:43], v[0:1] op_sel_hi:[1,0,1]
	v_mov_b32_e32 v8, v43
	v_pk_fma_f32 v[0:1], v[2:3], v[8:9], v[0:1] op_sel:[1,0,0] op_sel_hi:[0,0,1] neg_hi:[0,1,0]
	s_waitcnt lgkmcnt(0)
	v_pk_fma_f32 v[0:1], v[4:5], v[64:65], v[0:1] op_sel_hi:[1,0,1]
	v_mov_b32_e32 v2, v67
	v_pk_fma_f32 v[0:1], v[4:5], v[64:65], v[0:1] op_sel:[1,1,0] op_sel_hi:[0,1,1] neg_hi:[0,1,0]
	v_pk_fma_f32 v[0:1], v[6:7], v[66:67], v[0:1] op_sel_hi:[1,0,1]
	s_nop 0
	v_pk_fma_f32 v[44:45], v[6:7], v[2:3], v[0:1] op_sel:[1,0,0] op_sel_hi:[0,0,1] neg_hi:[0,1,0]
	ds_read_b128 v[0:3], v49 offset:128
	ds_read_b128 v[4:7], v49 offset:144
	ds_read2_b64 v[8:11], v56 offset1:32
	ds_read_b128 v[12:15], v49 offset:160
	ds_read_b128 v[36:39], v49 offset:176
	;; [unrolled: 1-line block ×4, first 2 shown]
	ds_read2_b64 v[68:71], v56 offset0:128 offset1:160
	ds_read2_b64 v[72:75], v56 offset0:64 offset1:96
	s_waitcnt lgkmcnt(6)
	v_pk_fma_f32 v[44:45], v[8:9], v[0:1], v[44:45] op_sel_hi:[1,0,1]
	s_waitcnt lgkmcnt(2)
	v_mov_b32_e32 v32, v67
	v_pk_fma_f32 v[0:1], v[8:9], v[0:1], v[44:45] op_sel:[0,1,1] op_sel_hi:[1,1,0] neg_lo:[0,1,0]
	s_nop 0
	v_pk_fma_f32 v[0:1], v[10:11], v[2:3], v[0:1] op_sel:[1,0,0] op_sel_hi:[0,0,1]
	v_mov_b32_e32 v2, v3
	v_pk_fma_f32 v[0:1], v[10:11], v[2:3], v[0:1] op_sel_hi:[1,0,1] neg_lo:[0,1,0]
	v_mov_b32_e32 v2, v7
	s_waitcnt lgkmcnt(0)
	v_pk_fma_f32 v[0:1], v[72:73], v[4:5], v[0:1] op_sel:[1,0,0] op_sel_hi:[0,0,1]
	v_pk_fma_f32 v[0:1], v[72:73], v[4:5], v[0:1] op_sel:[0,1,0] neg_lo:[0,1,0]
	s_nop 0
	v_pk_fma_f32 v[0:1], v[74:75], v[6:7], v[0:1] op_sel:[1,0,0] op_sel_hi:[0,0,1]
	v_pk_fma_f32 v[0:1], v[74:75], v[2:3], v[0:1] op_sel_hi:[1,0,1] neg_lo:[0,1,0]
	v_mov_b32_e32 v6, v15
	v_pk_fma_f32 v[4:5], v[68:69], v[12:13], v[0:1] op_sel:[1,0,0] op_sel_hi:[0,0,1]
	ds_read2_b64 v[0:3], v56 offset0:192 offset1:224
	v_pk_fma_f32 v[4:5], v[68:69], v[12:13], v[4:5] op_sel:[0,1,0] neg_lo:[0,1,0]
	s_nop 0
	v_pk_fma_f32 v[4:5], v[70:71], v[14:15], v[4:5] op_sel:[1,0,0] op_sel_hi:[0,0,1]
	v_pk_fma_f32 v[4:5], v[70:71], v[6:7], v[4:5] op_sel_hi:[1,0,1] neg_lo:[0,1,0]
	s_waitcnt lgkmcnt(0)
	v_pk_fma_f32 v[8:9], v[0:1], v[36:37], v[4:5] op_sel:[0,0,1] op_sel_hi:[1,0,0]
	ds_read2_b64 v[4:7], v58 offset1:32
	v_pk_fma_f32 v[0:1], v[0:1], v[36:37], v[8:9] op_sel:[1,1,0] op_sel_hi:[0,1,1] neg_hi:[0,1,0]
	v_pk_fma_f32 v[0:1], v[2:3], v[38:39], v[0:1] op_sel_hi:[1,0,1]
	v_mov_b32_e32 v8, v39
	v_pk_fma_f32 v[0:1], v[2:3], v[8:9], v[0:1] op_sel:[1,0,0] op_sel_hi:[0,0,1] neg_hi:[0,1,0]
	s_waitcnt lgkmcnt(0)
	v_pk_fma_f32 v[8:9], v[4:5], v[40:41], v[0:1] op_sel_hi:[1,0,1]
	ds_read2_b64 v[0:3], v58 offset0:64 offset1:96
	v_pk_fma_f32 v[4:5], v[4:5], v[40:41], v[8:9] op_sel:[1,1,0] op_sel_hi:[0,1,1] neg_hi:[0,1,0]
	v_pk_fma_f32 v[4:5], v[6:7], v[42:43], v[4:5] op_sel_hi:[1,0,1]
	v_mov_b32_e32 v8, v43
	v_pk_fma_f32 v[4:5], v[6:7], v[8:9], v[4:5] op_sel:[1,0,0] op_sel_hi:[0,0,1] neg_hi:[0,1,0]
	s_waitcnt lgkmcnt(0)
	v_pk_fma_f32 v[4:5], v[0:1], v[64:65], v[4:5] op_sel_hi:[1,0,1]
	s_nop 0
	v_pk_fma_f32 v[0:1], v[0:1], v[64:65], v[4:5] op_sel:[1,1,0] op_sel_hi:[0,1,1] neg_hi:[0,1,0]
	ds_read2_b64 v[4:7], v58 offset0:128 offset1:160
	ds_read_b128 v[8:11], v49 offset:224
	ds_read_b128 v[12:15], v49 offset:240
	v_pk_fma_f32 v[0:1], v[2:3], v[66:67], v[0:1] op_sel_hi:[1,0,1]
	s_nop 0
	v_pk_fma_f32 v[0:1], v[2:3], v[32:33], v[0:1] op_sel:[1,0,0] op_sel_hi:[0,0,1] neg_hi:[0,1,0]
	s_waitcnt lgkmcnt(1)
	v_pk_fma_f32 v[36:37], v[4:5], v[8:9], v[0:1] op_sel_hi:[1,0,1]
	ds_read2_b64 v[0:3], v58 offset0:192 offset1:224
	v_pk_fma_f32 v[4:5], v[4:5], v[8:9], v[36:37] op_sel:[1,1,0] op_sel_hi:[0,1,1] neg_hi:[0,1,0]
	v_pk_fma_f32 v[4:5], v[6:7], v[10:11], v[4:5] op_sel_hi:[1,0,1]
	v_mov_b32_e32 v8, v11
	v_pk_fma_f32 v[4:5], v[6:7], v[8:9], v[4:5] op_sel:[1,0,0] op_sel_hi:[0,0,1] neg_hi:[0,1,0]
	s_waitcnt lgkmcnt(0)
	v_pk_fma_f32 v[4:5], v[0:1], v[12:13], v[4:5] op_sel_hi:[1,0,1]
	s_nop 0
	v_pk_fma_f32 v[0:1], v[0:1], v[12:13], v[4:5] op_sel:[1,1,0] op_sel_hi:[0,1,1] neg_hi:[0,1,0]
	v_pk_fma_f32 v[0:1], v[2:3], v[14:15], v[0:1] op_sel_hi:[1,0,1]
	v_mov_b32_e32 v4, v15
	v_pk_fma_f32 v[4:5], v[2:3], v[4:5], v[0:1] op_sel:[1,0,0] op_sel_hi:[0,0,1] neg_hi:[0,1,0]
.LBB6_38:                               ;   in Loop: Header=BB6_12 Depth=3
	s_mov_b64 s[46:47], 0
.LBB6_39:                               ;   in Loop: Header=BB6_12 Depth=3
	s_andn2_b64 vcc, exec, s[46:47]
	s_cbranch_vccnz .LBB6_10
; %bb.40:                               ;   in Loop: Header=BB6_12 Depth=3
	ds_read2_b64 v[0:3], v48 offset1:32
	ds_read_b128 v[4:7], v49
	ds_read_b128 v[8:11], v49 offset:16
	ds_read_b128 v[12:15], v49 offset:32
	;; [unrolled: 1-line block ×3, first 2 shown]
	s_waitcnt lgkmcnt(4)
	v_pk_add_f32 v[40:41], v[0:1], 0 neg_lo:[1,1] neg_hi:[1,1]
	s_waitcnt lgkmcnt(0)
	v_mov_b32_e32 v32, v39
	v_mov_b32_e32 v40, v0
	v_pk_fma_f32 v[34:35], v[40:41], v[4:5], v[34:35] op_sel_hi:[1,0,1]
	ds_read2_b64 v[40:43], v48 offset0:64 offset1:96
	v_pk_fma_f32 v[0:1], v[0:1], v[4:5], v[34:35] op_sel:[0,1,1] op_sel_hi:[1,1,0] neg_lo:[0,1,0] neg_hi:[0,1,0]
	v_xor_b32_e32 v4, 0x80000000, v3
	v_mov_b32_e32 v5, v2
	v_pk_fma_f32 v[0:1], v[4:5], v[6:7], v[0:1] op_sel_hi:[1,0,1]
	v_mov_b32_e32 v4, v7
	v_pk_fma_f32 v[0:1], v[2:3], v[4:5], v[0:1] op_sel_hi:[1,0,1] neg_lo:[0,1,0] neg_hi:[0,1,0]
	s_waitcnt lgkmcnt(0)
	v_xor_b32_e32 v2, 0x80000000, v41
	v_mov_b32_e32 v3, v40
	v_pk_fma_f32 v[0:1], v[2:3], v[8:9], v[0:1] op_sel_hi:[1,0,1]
	v_xor_b32_e32 v6, 0x80000000, v43
	v_pk_fma_f32 v[4:5], v[40:41], v[8:9], v[0:1] op_sel:[0,1,0] neg_lo:[0,1,0] neg_hi:[0,1,0]
	ds_read2_b64 v[0:3], v48 offset0:128 offset1:160
	v_mov_b32_e32 v7, v42
	v_pk_fma_f32 v[4:5], v[6:7], v[10:11], v[4:5] op_sel_hi:[1,0,1]
	v_mov_b32_e32 v6, v11
	v_pk_fma_f32 v[4:5], v[42:43], v[6:7], v[4:5] op_sel_hi:[1,0,1] neg_lo:[0,1,0] neg_hi:[0,1,0]
	s_waitcnt lgkmcnt(0)
	v_xor_b32_e32 v6, 0x80000000, v1
	v_mov_b32_e32 v7, v0
	v_pk_fma_f32 v[4:5], v[6:7], v[12:13], v[4:5] op_sel_hi:[1,0,1]
	v_xor_b32_e32 v34, 0x80000000, v3
	v_pk_fma_f32 v[0:1], v[0:1], v[12:13], v[4:5] op_sel:[0,1,0] neg_lo:[0,1,0] neg_hi:[0,1,0]
	ds_read2_b64 v[4:7], v54 offset0:64 offset1:96
	ds_read_b128 v[8:11], v49 offset:64
	ds_read_b128 v[40:43], v49 offset:80
	;; [unrolled: 1-line block ×4, first 2 shown]
	ds_read2_b64 v[72:75], v48 offset0:192 offset1:224
	v_mov_b32_e32 v35, v2
	v_pk_fma_f32 v[0:1], v[34:35], v[14:15], v[0:1] op_sel_hi:[1,0,1]
	v_mov_b32_e32 v14, v15
	v_pk_fma_f32 v[0:1], v[2:3], v[14:15], v[0:1] op_sel_hi:[1,0,1] neg_lo:[0,1,0] neg_hi:[0,1,0]
	s_waitcnt lgkmcnt(0)
	v_xor_b32_e32 v2, 0x80000000, v73
	v_mov_b32_e32 v3, v72
	v_pk_fma_f32 v[0:1], v[2:3], v[36:37], v[0:1] op_sel_hi:[1,0,1]
	v_xor_b32_e32 v34, 0x80000000, v75
	v_pk_fma_f32 v[14:15], v[72:73], v[36:37], v[0:1] op_sel:[0,1,0] neg_lo:[0,1,0] neg_hi:[0,1,0]
	ds_read2_b64 v[0:3], v54 offset1:32
	v_mov_b32_e32 v35, v74
	v_pk_fma_f32 v[14:15], v[34:35], v[38:39], v[14:15] op_sel_hi:[1,0,1]
	v_xor_b32_e32 v12, 0x80000000, v5
	v_pk_fma_f32 v[14:15], v[74:75], v[32:33], v[14:15] op_sel_hi:[1,0,1] neg_lo:[0,1,0] neg_hi:[0,1,0]
	s_waitcnt lgkmcnt(0)
	v_xor_b32_e32 v34, 0x80000000, v1
	v_mov_b32_e32 v35, v0
	v_pk_fma_f32 v[14:15], v[34:35], v[8:9], v[14:15] op_sel_hi:[1,0,1]
	v_mov_b32_e32 v13, v4
	v_pk_fma_f32 v[0:1], v[0:1], v[8:9], v[14:15] op_sel:[0,1,0] neg_lo:[0,1,0] neg_hi:[0,1,0]
	v_xor_b32_e32 v8, 0x80000000, v3
	v_mov_b32_e32 v9, v2
	v_pk_fma_f32 v[0:1], v[8:9], v[10:11], v[0:1] op_sel_hi:[1,0,1]
	v_mov_b32_e32 v8, v11
	v_pk_fma_f32 v[0:1], v[2:3], v[8:9], v[0:1] op_sel_hi:[1,0,1] neg_lo:[0,1,0] neg_hi:[0,1,0]
	v_xor_b32_e32 v8, 0x80000000, v7
	v_pk_fma_f32 v[0:1], v[12:13], v[40:41], v[0:1] op_sel_hi:[1,0,1]
	v_mov_b32_e32 v9, v6
	v_pk_fma_f32 v[4:5], v[4:5], v[40:41], v[0:1] op_sel:[0,1,0] neg_lo:[0,1,0] neg_hi:[0,1,0]
	ds_read2_b64 v[0:3], v54 offset0:128 offset1:160
	v_pk_fma_f32 v[4:5], v[8:9], v[42:43], v[4:5] op_sel_hi:[1,0,1]
	v_mov_b32_e32 v8, v43
	v_pk_fma_f32 v[4:5], v[6:7], v[8:9], v[4:5] op_sel_hi:[1,0,1] neg_lo:[0,1,0] neg_hi:[0,1,0]
	s_waitcnt lgkmcnt(0)
	v_xor_b32_e32 v6, 0x80000000, v1
	v_mov_b32_e32 v7, v0
	v_pk_fma_f32 v[4:5], v[6:7], v[64:65], v[4:5] op_sel_hi:[1,0,1]
	v_xor_b32_e32 v8, 0x80000000, v3
	v_pk_fma_f32 v[0:1], v[0:1], v[64:65], v[4:5] op_sel:[0,1,0] neg_lo:[0,1,0] neg_hi:[0,1,0]
	ds_read2_b64 v[4:7], v54 offset0:192 offset1:224
	v_mov_b32_e32 v9, v2
	v_pk_fma_f32 v[0:1], v[8:9], v[66:67], v[0:1] op_sel_hi:[1,0,1]
	v_mov_b32_e32 v8, v67
	v_pk_fma_f32 v[0:1], v[2:3], v[8:9], v[0:1] op_sel_hi:[1,0,1] neg_lo:[0,1,0] neg_hi:[0,1,0]
	s_waitcnt lgkmcnt(0)
	v_xor_b32_e32 v2, 0x80000000, v5
	v_mov_b32_e32 v3, v4
	v_pk_fma_f32 v[0:1], v[2:3], v[68:69], v[0:1] op_sel_hi:[1,0,1]
	v_xor_b32_e32 v2, 0x80000000, v7
	v_pk_fma_f32 v[0:1], v[4:5], v[68:69], v[0:1] op_sel:[0,1,0] neg_lo:[0,1,0] neg_hi:[0,1,0]
	v_mov_b32_e32 v3, v6
	v_pk_fma_f32 v[0:1], v[2:3], v[70:71], v[0:1] op_sel_hi:[1,0,1]
	v_mov_b32_e32 v2, v71
	v_pk_fma_f32 v[68:69], v[6:7], v[2:3], v[0:1] op_sel_hi:[1,0,1] neg_lo:[0,1,0] neg_hi:[0,1,0]
	ds_read_b128 v[0:3], v49 offset:128
	ds_read_b128 v[4:7], v49 offset:144
	ds_read2_b64 v[8:11], v56 offset0:128 offset1:160
	ds_read2_b64 v[12:15], v56 offset1:32
	ds_read_b128 v[34:37], v49 offset:160
	ds_read_b128 v[38:41], v49 offset:176
	;; [unrolled: 1-line block ×4, first 2 shown]
	s_waitcnt lgkmcnt(4)
	v_xor_b32_e32 v70, 0x80000000, v13
	v_mov_b32_e32 v71, v12
	v_pk_fma_f32 v[68:69], v[70:71], v[0:1], v[68:69] op_sel_hi:[1,0,1]
	v_xor_b32_e32 v72, 0x80000000, v11
	v_pk_fma_f32 v[0:1], v[12:13], v[0:1], v[68:69] op_sel:[0,1,0] neg_lo:[0,1,0] neg_hi:[0,1,0]
	ds_read2_b64 v[68:71], v56 offset0:64 offset1:96
	v_xor_b32_e32 v12, 0x80000000, v15
	v_mov_b32_e32 v13, v14
	v_pk_fma_f32 v[0:1], v[12:13], v[2:3], v[0:1] op_sel_hi:[1,0,1]
	v_mov_b32_e32 v2, v3
	v_pk_fma_f32 v[0:1], v[14:15], v[2:3], v[0:1] op_sel_hi:[1,0,1] neg_lo:[0,1,0] neg_hi:[0,1,0]
	s_waitcnt lgkmcnt(0)
	v_xor_b32_e32 v2, 0x80000000, v69
	v_mov_b32_e32 v3, v68
	v_pk_fma_f32 v[0:1], v[2:3], v[4:5], v[0:1] op_sel_hi:[1,0,1]
	v_xor_b32_e32 v2, 0x80000000, v71
	v_pk_fma_f32 v[0:1], v[68:69], v[4:5], v[0:1] op_sel:[0,1,0] neg_lo:[0,1,0] neg_hi:[0,1,0]
	v_mov_b32_e32 v3, v70
	v_pk_fma_f32 v[0:1], v[2:3], v[6:7], v[0:1] op_sel_hi:[1,0,1]
	v_mov_b32_e32 v2, v7
	v_pk_fma_f32 v[0:1], v[70:71], v[2:3], v[0:1] op_sel_hi:[1,0,1] neg_lo:[0,1,0] neg_hi:[0,1,0]
	v_xor_b32_e32 v2, 0x80000000, v9
	v_mov_b32_e32 v3, v8
	v_pk_fma_f32 v[0:1], v[2:3], v[34:35], v[0:1] op_sel_hi:[1,0,1]
	v_mov_b32_e32 v73, v10
	v_pk_fma_f32 v[4:5], v[8:9], v[34:35], v[0:1] op_sel:[0,1,0] neg_lo:[0,1,0] neg_hi:[0,1,0]
	ds_read2_b64 v[0:3], v56 offset0:192 offset1:224
	v_pk_fma_f32 v[4:5], v[72:73], v[36:37], v[4:5] op_sel_hi:[1,0,1]
	v_mov_b32_e32 v6, v37
	v_pk_fma_f32 v[4:5], v[10:11], v[6:7], v[4:5] op_sel_hi:[1,0,1] neg_lo:[0,1,0] neg_hi:[0,1,0]
	v_mov_b32_e32 v32, v67
	s_waitcnt lgkmcnt(0)
	v_xor_b32_e32 v7, 0x80000000, v1
	v_mov_b32_e32 v6, v0
	v_pk_fma_f32 v[4:5], v[6:7], v[38:39], v[4:5] op_sel:[0,0,1] op_sel_hi:[1,0,0]
	v_xor_b32_e32 v9, 0x80000000, v3
	v_pk_fma_f32 v[0:1], v[0:1], v[38:39], v[4:5] op_sel:[1,1,0] op_sel_hi:[0,1,1] neg_lo:[0,1,0] neg_hi:[0,1,0]
	ds_read2_b64 v[4:7], v58 offset1:32
	v_mov_b32_e32 v8, v2
	v_pk_fma_f32 v[0:1], v[8:9], v[40:41], v[0:1] op_sel_hi:[1,0,1]
	v_mov_b32_e32 v8, v41
	v_pk_fma_f32 v[0:1], v[2:3], v[8:9], v[0:1] op_sel:[1,0,0] op_sel_hi:[0,0,1] neg_lo:[0,1,0] neg_hi:[0,1,0]
	s_waitcnt lgkmcnt(0)
	v_xor_b32_e32 v3, 0x80000000, v5
	v_mov_b32_e32 v2, v4
	v_pk_fma_f32 v[0:1], v[2:3], v[42:43], v[0:1] op_sel_hi:[1,0,1]
	v_xor_b32_e32 v9, 0x80000000, v7
	v_pk_fma_f32 v[4:5], v[4:5], v[42:43], v[0:1] op_sel:[1,1,0] op_sel_hi:[0,1,1] neg_lo:[0,1,0] neg_hi:[0,1,0]
	ds_read2_b64 v[0:3], v58 offset0:64 offset1:96
	v_mov_b32_e32 v8, v6
	v_pk_fma_f32 v[4:5], v[8:9], v[44:45], v[4:5] op_sel_hi:[1,0,1]
	v_mov_b32_e32 v8, v45
	v_pk_fma_f32 v[4:5], v[6:7], v[8:9], v[4:5] op_sel:[1,0,0] op_sel_hi:[0,0,1] neg_lo:[0,1,0] neg_hi:[0,1,0]
	s_waitcnt lgkmcnt(0)
	v_xor_b32_e32 v7, 0x80000000, v1
	v_mov_b32_e32 v6, v0
	v_pk_fma_f32 v[4:5], v[6:7], v[64:65], v[4:5] op_sel_hi:[1,0,1]
	v_xor_b32_e32 v35, 0x80000000, v3
	v_pk_fma_f32 v[0:1], v[0:1], v[64:65], v[4:5] op_sel:[1,1,0] op_sel_hi:[0,1,1] neg_lo:[0,1,0] neg_hi:[0,1,0]
	ds_read_b128 v[4:7], v49 offset:224
	ds_read_b128 v[8:11], v49 offset:240
	ds_read2_b64 v[12:15], v58 offset0:128 offset1:160
	v_mov_b32_e32 v34, v2
	v_pk_fma_f32 v[0:1], v[34:35], v[66:67], v[0:1] op_sel_hi:[1,0,1]
	s_nop 0
	v_pk_fma_f32 v[0:1], v[2:3], v[32:33], v[0:1] op_sel:[1,0,0] op_sel_hi:[0,0,1] neg_lo:[0,1,0] neg_hi:[0,1,0]
	s_waitcnt lgkmcnt(0)
	v_xor_b32_e32 v3, 0x80000000, v13
	v_mov_b32_e32 v2, v12
	v_pk_fma_f32 v[0:1], v[2:3], v[4:5], v[0:1] op_sel_hi:[1,0,1]
	s_nop 0
	v_pk_fma_f32 v[4:5], v[12:13], v[4:5], v[0:1] op_sel:[1,1,0] op_sel_hi:[0,1,1] neg_lo:[0,1,0] neg_hi:[0,1,0]
	ds_read2_b64 v[0:3], v58 offset0:192 offset1:224
	v_xor_b32_e32 v13, 0x80000000, v15
	v_mov_b32_e32 v12, v14
	v_pk_fma_f32 v[4:5], v[12:13], v[6:7], v[4:5] op_sel_hi:[1,0,1]
	v_mov_b32_e32 v6, v7
	v_pk_fma_f32 v[4:5], v[14:15], v[6:7], v[4:5] op_sel:[1,0,0] op_sel_hi:[0,0,1] neg_lo:[0,1,0] neg_hi:[0,1,0]
	s_waitcnt lgkmcnt(0)
	v_xor_b32_e32 v7, 0x80000000, v1
	v_mov_b32_e32 v6, v0
	v_pk_fma_f32 v[4:5], v[6:7], v[8:9], v[4:5] op_sel_hi:[1,0,1]
	s_nop 0
	v_pk_fma_f32 v[0:1], v[0:1], v[8:9], v[4:5] op_sel:[1,1,0] op_sel_hi:[0,1,1] neg_lo:[0,1,0] neg_hi:[0,1,0]
	v_xor_b32_e32 v5, 0x80000000, v3
	v_mov_b32_e32 v4, v2
	v_pk_fma_f32 v[0:1], v[4:5], v[10:11], v[0:1] op_sel_hi:[1,0,1]
	v_mov_b32_e32 v4, v11
	v_pk_fma_f32 v[4:5], v[2:3], v[4:5], v[0:1] op_sel:[1,0,0] op_sel_hi:[0,0,1] neg_lo:[0,1,0] neg_hi:[0,1,0]
	s_branch .LBB6_10
.LBB6_41:                               ;   in Loop: Header=BB6_12 Depth=3
	s_mov_b64 s[46:47], 0
                                        ; implicit-def: $vgpr0
	s_cbranch_execz .LBB6_26
.LBB6_42:                               ;   in Loop: Header=BB6_12 Depth=3
                                        ; implicit-def: $vgpr0
	s_and_saveexec_b64 s[50:51], s[48:49]
; %bb.43:                               ;   in Loop: Header=BB6_12 Depth=3
	v_add_u32_e32 v0, v1, v61
	s_or_b64 s[46:47], s[46:47], exec
; %bb.44:                               ;   in Loop: Header=BB6_12 Depth=3
	s_or_b64 exec, exec, s[50:51]
	v_mov_b32_e32 v2, 0
	v_mov_b32_e32 v3, 0
	s_and_saveexec_b64 s[48:49], s[46:47]
	s_cbranch_execnz .LBB6_27
	s_branch .LBB6_28
.LBB6_45:                               ;   in Loop: Header=BB6_6 Depth=1
	v_mov_b64_e32 v[34:35], v[32:33]
.LBB6_46:                               ;   in Loop: Header=BB6_6 Depth=1
	v_add_u32_e32 v2, s3, v59
	v_ashrrev_i32_e32 v3, 31, v2
	s_mov_b64 s[4:5], -1
	s_and_b64 vcc, exec, s[36:37]
                                        ; implicit-def: $vgpr0_vgpr1
	s_cbranch_vccnz .LBB6_49
; %bb.47:                               ;   in Loop: Header=BB6_6 Depth=1
	s_andn2_b64 vcc, exec, s[4:5]
	s_cbranch_vccz .LBB6_50
.LBB6_48:                               ;   in Loop: Header=BB6_6 Depth=1
	v_cmp_gt_i32_e32 vcc, s23, v59
	s_and_b64 s[6:7], s[38:39], vcc
	s_and_saveexec_b64 s[4:5], s[6:7]
	s_cbranch_execz .LBB6_5
	s_branch .LBB6_51
.LBB6_49:                               ;   in Loop: Header=BB6_6 Depth=1
	v_mad_u64_u32 v[0:1], s[4:5], s26, v2, v[20:21]
	v_mul_lo_u32 v4, s26, v3
	v_mul_lo_u32 v5, s27, v2
	v_add3_u32 v1, v5, v1, v4
	s_cbranch_execnz .LBB6_48
.LBB6_50:                               ;   in Loop: Header=BB6_6 Depth=1
	v_lshl_add_u64 v[0:1], v[26:27], 0, v[2:3]
	v_cmp_gt_i32_e32 vcc, s23, v59
	s_and_b64 s[6:7], s[38:39], vcc
	s_and_saveexec_b64 s[4:5], s[6:7]
	s_cbranch_execz .LBB6_5
.LBB6_51:                               ;   in Loop: Header=BB6_6 Depth=1
	v_pk_mul_f32 v[2:3], v[34:35], v[28:29] op_sel:[1,0]
	v_lshl_add_u64 v[0:1], v[0:1], 3, s[24:25]
	v_pk_fma_f32 v[2:3], v[16:17], v[34:35], v[2:3] op_sel_hi:[1,0,1]
	s_and_saveexec_b64 s[6:7], s[40:41]
	s_xor_b64 s[6:7], exec, s[6:7]
	s_cbranch_execz .LBB6_53
; %bb.52:                               ;   in Loop: Header=BB6_6 Depth=1
	global_load_dwordx2 v[4:5], v[0:1], off
	s_waitcnt vmcnt(0)
	v_pk_fma_f32 v[2:3], v[18:19], v[4:5], v[2:3] op_sel_hi:[1,0,1]
	s_nop 0
	v_pk_fma_f32 v[2:3], v[30:31], v[4:5], v[2:3] op_sel:[0,1,0]
	global_store_dwordx2 v[0:1], v[2:3], off
                                        ; implicit-def: $vgpr0_vgpr1
                                        ; implicit-def: $vgpr2_vgpr3
.LBB6_53:                               ;   in Loop: Header=BB6_6 Depth=1
	s_andn2_saveexec_b64 s[6:7], s[6:7]
	s_cbranch_execz .LBB6_5
; %bb.54:                               ;   in Loop: Header=BB6_6 Depth=1
	global_store_dwordx2 v[0:1], v[2:3], off
	s_branch .LBB6_5
.LBB6_55:
	s_endpgm
	.section	.rodata,"a",@progbits
	.p2align	6, 0x0
	.amdhsa_kernel _ZN9rocsparseL30bellmm_general_blockdim_kernelILi32ELi32E21rocsparse_complex_numIfEiS2_S2_S2_EEv20rocsparse_operation_S3_20rocsparse_direction_T2_S5_NS_24const_host_device_scalarIT1_EES5_S5_PKS5_PKT3_PKT4_l16rocsparse_order_S8_PT5_lSH_21rocsparse_index_base_b
		.amdhsa_group_segment_fixed_size 16384
		.amdhsa_private_segment_fixed_size 0
		.amdhsa_kernarg_size 116
		.amdhsa_user_sgpr_count 2
		.amdhsa_user_sgpr_dispatch_ptr 0
		.amdhsa_user_sgpr_queue_ptr 0
		.amdhsa_user_sgpr_kernarg_segment_ptr 1
		.amdhsa_user_sgpr_dispatch_id 0
		.amdhsa_user_sgpr_kernarg_preload_length 0
		.amdhsa_user_sgpr_kernarg_preload_offset 0
		.amdhsa_user_sgpr_private_segment_size 0
		.amdhsa_uses_dynamic_stack 0
		.amdhsa_enable_private_segment 0
		.amdhsa_system_sgpr_workgroup_id_x 1
		.amdhsa_system_sgpr_workgroup_id_y 1
		.amdhsa_system_sgpr_workgroup_id_z 0
		.amdhsa_system_sgpr_workgroup_info 0
		.amdhsa_system_vgpr_workitem_id 1
		.amdhsa_next_free_vgpr 76
		.amdhsa_next_free_sgpr 60
		.amdhsa_accum_offset 76
		.amdhsa_reserve_vcc 1
		.amdhsa_float_round_mode_32 0
		.amdhsa_float_round_mode_16_64 0
		.amdhsa_float_denorm_mode_32 3
		.amdhsa_float_denorm_mode_16_64 3
		.amdhsa_dx10_clamp 1
		.amdhsa_ieee_mode 1
		.amdhsa_fp16_overflow 0
		.amdhsa_tg_split 0
		.amdhsa_exception_fp_ieee_invalid_op 0
		.amdhsa_exception_fp_denorm_src 0
		.amdhsa_exception_fp_ieee_div_zero 0
		.amdhsa_exception_fp_ieee_overflow 0
		.amdhsa_exception_fp_ieee_underflow 0
		.amdhsa_exception_fp_ieee_inexact 0
		.amdhsa_exception_int_div_zero 0
	.end_amdhsa_kernel
	.section	.text._ZN9rocsparseL30bellmm_general_blockdim_kernelILi32ELi32E21rocsparse_complex_numIfEiS2_S2_S2_EEv20rocsparse_operation_S3_20rocsparse_direction_T2_S5_NS_24const_host_device_scalarIT1_EES5_S5_PKS5_PKT3_PKT4_l16rocsparse_order_S8_PT5_lSH_21rocsparse_index_base_b,"axG",@progbits,_ZN9rocsparseL30bellmm_general_blockdim_kernelILi32ELi32E21rocsparse_complex_numIfEiS2_S2_S2_EEv20rocsparse_operation_S3_20rocsparse_direction_T2_S5_NS_24const_host_device_scalarIT1_EES5_S5_PKS5_PKT3_PKT4_l16rocsparse_order_S8_PT5_lSH_21rocsparse_index_base_b,comdat
.Lfunc_end6:
	.size	_ZN9rocsparseL30bellmm_general_blockdim_kernelILi32ELi32E21rocsparse_complex_numIfEiS2_S2_S2_EEv20rocsparse_operation_S3_20rocsparse_direction_T2_S5_NS_24const_host_device_scalarIT1_EES5_S5_PKS5_PKT3_PKT4_l16rocsparse_order_S8_PT5_lSH_21rocsparse_index_base_b, .Lfunc_end6-_ZN9rocsparseL30bellmm_general_blockdim_kernelILi32ELi32E21rocsparse_complex_numIfEiS2_S2_S2_EEv20rocsparse_operation_S3_20rocsparse_direction_T2_S5_NS_24const_host_device_scalarIT1_EES5_S5_PKS5_PKT3_PKT4_l16rocsparse_order_S8_PT5_lSH_21rocsparse_index_base_b
                                        ; -- End function
	.set _ZN9rocsparseL30bellmm_general_blockdim_kernelILi32ELi32E21rocsparse_complex_numIfEiS2_S2_S2_EEv20rocsparse_operation_S3_20rocsparse_direction_T2_S5_NS_24const_host_device_scalarIT1_EES5_S5_PKS5_PKT3_PKT4_l16rocsparse_order_S8_PT5_lSH_21rocsparse_index_base_b.num_vgpr, 76
	.set _ZN9rocsparseL30bellmm_general_blockdim_kernelILi32ELi32E21rocsparse_complex_numIfEiS2_S2_S2_EEv20rocsparse_operation_S3_20rocsparse_direction_T2_S5_NS_24const_host_device_scalarIT1_EES5_S5_PKS5_PKT3_PKT4_l16rocsparse_order_S8_PT5_lSH_21rocsparse_index_base_b.num_agpr, 0
	.set _ZN9rocsparseL30bellmm_general_blockdim_kernelILi32ELi32E21rocsparse_complex_numIfEiS2_S2_S2_EEv20rocsparse_operation_S3_20rocsparse_direction_T2_S5_NS_24const_host_device_scalarIT1_EES5_S5_PKS5_PKT3_PKT4_l16rocsparse_order_S8_PT5_lSH_21rocsparse_index_base_b.numbered_sgpr, 60
	.set _ZN9rocsparseL30bellmm_general_blockdim_kernelILi32ELi32E21rocsparse_complex_numIfEiS2_S2_S2_EEv20rocsparse_operation_S3_20rocsparse_direction_T2_S5_NS_24const_host_device_scalarIT1_EES5_S5_PKS5_PKT3_PKT4_l16rocsparse_order_S8_PT5_lSH_21rocsparse_index_base_b.num_named_barrier, 0
	.set _ZN9rocsparseL30bellmm_general_blockdim_kernelILi32ELi32E21rocsparse_complex_numIfEiS2_S2_S2_EEv20rocsparse_operation_S3_20rocsparse_direction_T2_S5_NS_24const_host_device_scalarIT1_EES5_S5_PKS5_PKT3_PKT4_l16rocsparse_order_S8_PT5_lSH_21rocsparse_index_base_b.private_seg_size, 0
	.set _ZN9rocsparseL30bellmm_general_blockdim_kernelILi32ELi32E21rocsparse_complex_numIfEiS2_S2_S2_EEv20rocsparse_operation_S3_20rocsparse_direction_T2_S5_NS_24const_host_device_scalarIT1_EES5_S5_PKS5_PKT3_PKT4_l16rocsparse_order_S8_PT5_lSH_21rocsparse_index_base_b.uses_vcc, 1
	.set _ZN9rocsparseL30bellmm_general_blockdim_kernelILi32ELi32E21rocsparse_complex_numIfEiS2_S2_S2_EEv20rocsparse_operation_S3_20rocsparse_direction_T2_S5_NS_24const_host_device_scalarIT1_EES5_S5_PKS5_PKT3_PKT4_l16rocsparse_order_S8_PT5_lSH_21rocsparse_index_base_b.uses_flat_scratch, 0
	.set _ZN9rocsparseL30bellmm_general_blockdim_kernelILi32ELi32E21rocsparse_complex_numIfEiS2_S2_S2_EEv20rocsparse_operation_S3_20rocsparse_direction_T2_S5_NS_24const_host_device_scalarIT1_EES5_S5_PKS5_PKT3_PKT4_l16rocsparse_order_S8_PT5_lSH_21rocsparse_index_base_b.has_dyn_sized_stack, 0
	.set _ZN9rocsparseL30bellmm_general_blockdim_kernelILi32ELi32E21rocsparse_complex_numIfEiS2_S2_S2_EEv20rocsparse_operation_S3_20rocsparse_direction_T2_S5_NS_24const_host_device_scalarIT1_EES5_S5_PKS5_PKT3_PKT4_l16rocsparse_order_S8_PT5_lSH_21rocsparse_index_base_b.has_recursion, 0
	.set _ZN9rocsparseL30bellmm_general_blockdim_kernelILi32ELi32E21rocsparse_complex_numIfEiS2_S2_S2_EEv20rocsparse_operation_S3_20rocsparse_direction_T2_S5_NS_24const_host_device_scalarIT1_EES5_S5_PKS5_PKT3_PKT4_l16rocsparse_order_S8_PT5_lSH_21rocsparse_index_base_b.has_indirect_call, 0
	.section	.AMDGPU.csdata,"",@progbits
; Kernel info:
; codeLenInByte = 6436
; TotalNumSgprs: 66
; NumVgprs: 76
; NumAgprs: 0
; TotalNumVgprs: 76
; ScratchSize: 0
; MemoryBound: 0
; FloatMode: 240
; IeeeMode: 1
; LDSByteSize: 16384 bytes/workgroup (compile time only)
; SGPRBlocks: 8
; VGPRBlocks: 9
; NumSGPRsForWavesPerEU: 66
; NumVGPRsForWavesPerEU: 76
; AccumOffset: 76
; Occupancy: 6
; WaveLimiterHint : 0
; COMPUTE_PGM_RSRC2:SCRATCH_EN: 0
; COMPUTE_PGM_RSRC2:USER_SGPR: 2
; COMPUTE_PGM_RSRC2:TRAP_HANDLER: 0
; COMPUTE_PGM_RSRC2:TGID_X_EN: 1
; COMPUTE_PGM_RSRC2:TGID_Y_EN: 1
; COMPUTE_PGM_RSRC2:TGID_Z_EN: 0
; COMPUTE_PGM_RSRC2:TIDIG_COMP_CNT: 1
; COMPUTE_PGM_RSRC3_GFX90A:ACCUM_OFFSET: 18
; COMPUTE_PGM_RSRC3_GFX90A:TG_SPLIT: 0
	.section	.text._ZN9rocsparseL30bellmm_general_blockdim_kernelILi32ELi32E21rocsparse_complex_numIfElS2_S2_S2_EEv20rocsparse_operation_S3_20rocsparse_direction_T2_S5_NS_24const_host_device_scalarIT1_EES5_S5_PKS5_PKT3_PKT4_l16rocsparse_order_S8_PT5_lSH_21rocsparse_index_base_b,"axG",@progbits,_ZN9rocsparseL30bellmm_general_blockdim_kernelILi32ELi32E21rocsparse_complex_numIfElS2_S2_S2_EEv20rocsparse_operation_S3_20rocsparse_direction_T2_S5_NS_24const_host_device_scalarIT1_EES5_S5_PKS5_PKT3_PKT4_l16rocsparse_order_S8_PT5_lSH_21rocsparse_index_base_b,comdat
	.globl	_ZN9rocsparseL30bellmm_general_blockdim_kernelILi32ELi32E21rocsparse_complex_numIfElS2_S2_S2_EEv20rocsparse_operation_S3_20rocsparse_direction_T2_S5_NS_24const_host_device_scalarIT1_EES5_S5_PKS5_PKT3_PKT4_l16rocsparse_order_S8_PT5_lSH_21rocsparse_index_base_b ; -- Begin function _ZN9rocsparseL30bellmm_general_blockdim_kernelILi32ELi32E21rocsparse_complex_numIfElS2_S2_S2_EEv20rocsparse_operation_S3_20rocsparse_direction_T2_S5_NS_24const_host_device_scalarIT1_EES5_S5_PKS5_PKT3_PKT4_l16rocsparse_order_S8_PT5_lSH_21rocsparse_index_base_b
	.p2align	8
	.type	_ZN9rocsparseL30bellmm_general_blockdim_kernelILi32ELi32E21rocsparse_complex_numIfElS2_S2_S2_EEv20rocsparse_operation_S3_20rocsparse_direction_T2_S5_NS_24const_host_device_scalarIT1_EES5_S5_PKS5_PKT3_PKT4_l16rocsparse_order_S8_PT5_lSH_21rocsparse_index_base_b,@function
_ZN9rocsparseL30bellmm_general_blockdim_kernelILi32ELi32E21rocsparse_complex_numIfElS2_S2_S2_EEv20rocsparse_operation_S3_20rocsparse_direction_T2_S5_NS_24const_host_device_scalarIT1_EES5_S5_PKS5_PKT3_PKT4_l16rocsparse_order_S8_PT5_lSH_21rocsparse_index_base_b: ; @_ZN9rocsparseL30bellmm_general_blockdim_kernelILi32ELi32E21rocsparse_complex_numIfElS2_S2_S2_EEv20rocsparse_operation_S3_20rocsparse_direction_T2_S5_NS_24const_host_device_scalarIT1_EES5_S5_PKS5_PKT3_PKT4_l16rocsparse_order_S8_PT5_lSH_21rocsparse_index_base_b
; %bb.0:
	s_load_dwordx4 s[24:27], s[0:1], 0x78
	s_load_dwordx2 s[4:5], s[0:1], 0x60
	s_mov_b32 s8, s3
	s_load_dwordx8 s[12:19], s[0:1], 0x10
	s_add_u32 s3, s0, 32
	s_addc_u32 s6, s1, 0
	s_add_u32 s7, s0, 0x60
	s_addc_u32 s9, s1, 0
	s_waitcnt lgkmcnt(0)
	s_bitcmp1_b32 s26, 0
	s_cselect_b32 s6, s6, s17
	s_cselect_b32 s3, s3, s16
	v_mov_b32_e32 v2, s3
	v_mov_b32_e32 v3, s6
	s_cselect_b32 s3, s9, s5
	s_cselect_b32 s4, s7, s4
	flat_load_dwordx2 v[4:5], v[2:3]
	v_mov_b32_e32 v2, s4
	v_mov_b32_e32 v3, s3
	flat_load_dwordx2 v[6:7], v[2:3]
	s_mov_b32 s3, 0
	s_waitcnt vmcnt(0) lgkmcnt(0)
	v_cmp_eq_f32_e32 vcc, 0, v4
	v_cmp_eq_f32_e64 s[6:7], 0, v5
	s_and_b64 s[6:7], vcc, s[6:7]
	v_cmp_eq_f32_e64 s[10:11], 1.0, v6
	v_cmp_eq_f32_e64 s[4:5], 0, v7
	s_and_b64 s[10:11], s[10:11], s[4:5]
	s_and_b64 s[6:7], s[6:7], s[10:11]
	s_xor_b64 s[6:7], s[6:7], -1
	s_and_saveexec_b64 s[10:11], s[6:7]
	s_cbranch_execz .LBB7_53
; %bb.1:
	s_load_dwordx2 s[26:27], s[0:1], 0x30
	v_mov_b64_e32 v[2:3], s[2:3]
	v_cmp_le_i64_e32 vcc, s[12:13], v[2:3]
	v_cmp_gt_i64_e64 s[6:7], s[12:13], v[2:3]
	s_mov_b64 s[28:29], 0
	s_cbranch_vccnz .LBB7_5
; %bb.2:
	s_waitcnt lgkmcnt(0)
	s_or_b64 s[10:11], s[18:19], s[26:27]
	s_mov_b32 s10, 0
	s_cmp_lg_u64 s[10:11], 0
	s_cbranch_scc0 .LBB7_54
; %bb.3:
	s_ashr_i32 s10, s27, 31
	s_add_u32 s16, s26, s10
	s_mov_b32 s11, s10
	s_addc_u32 s17, s27, s10
	s_xor_b64 s[20:21], s[16:17], s[10:11]
	v_cvt_f32_u32_e32 v1, s20
	v_cvt_f32_u32_e32 v2, s21
	s_sub_u32 s3, 0, s20
	s_subb_u32 s9, 0, s21
	v_fmamk_f32 v1, v2, 0x4f800000, v1
	v_rcp_f32_e32 v1, v1
	s_nop 0
	v_mul_f32_e32 v1, 0x5f7ffffc, v1
	v_mul_f32_e32 v2, 0x2f800000, v1
	v_trunc_f32_e32 v2, v2
	v_fmamk_f32 v1, v2, 0xcf800000, v1
	v_cvt_u32_f32_e32 v2, v2
	v_cvt_u32_f32_e32 v1, v1
	v_readfirstlane_b32 s28, v2
	v_readfirstlane_b32 s22, v1
	s_mul_i32 s23, s3, s28
	s_mul_hi_u32 s30, s3, s22
	s_mul_i32 s29, s9, s22
	s_add_i32 s23, s30, s23
	s_add_i32 s23, s23, s29
	s_mul_i32 s31, s3, s22
	s_mul_i32 s30, s22, s23
	s_mul_hi_u32 s33, s22, s31
	s_mul_hi_u32 s29, s22, s23
	s_add_u32 s30, s33, s30
	s_addc_u32 s29, 0, s29
	s_mul_hi_u32 s34, s28, s31
	s_mul_i32 s31, s28, s31
	s_add_u32 s30, s30, s31
	s_mul_hi_u32 s33, s28, s23
	s_addc_u32 s29, s29, s34
	s_addc_u32 s30, s33, 0
	s_mul_i32 s23, s28, s23
	s_add_u32 s23, s29, s23
	s_addc_u32 s29, 0, s30
	s_add_u32 s30, s22, s23
	s_cselect_b64 s[22:23], -1, 0
	s_cmp_lg_u64 s[22:23], 0
	s_addc_u32 s28, s28, s29
	s_mul_i32 s22, s3, s28
	s_mul_hi_u32 s23, s3, s30
	s_add_i32 s22, s23, s22
	s_mul_i32 s9, s9, s30
	s_add_i32 s22, s22, s9
	s_mul_i32 s3, s3, s30
	s_mul_hi_u32 s23, s28, s3
	s_mul_i32 s29, s28, s3
	s_mul_i32 s33, s30, s22
	s_mul_hi_u32 s3, s30, s3
	s_mul_hi_u32 s31, s30, s22
	s_add_u32 s3, s3, s33
	s_addc_u32 s31, 0, s31
	s_add_u32 s3, s3, s29
	s_mul_hi_u32 s9, s28, s22
	s_addc_u32 s3, s31, s23
	s_addc_u32 s9, s9, 0
	s_mul_i32 s22, s28, s22
	s_add_u32 s3, s3, s22
	s_addc_u32 s9, 0, s9
	s_add_u32 s3, s30, s3
	s_cselect_b64 s[22:23], -1, 0
	s_cmp_lg_u64 s[22:23], 0
	s_addc_u32 s9, s28, s9
	s_ashr_i32 s22, s19, 31
	s_add_u32 s28, s18, s22
	s_mov_b32 s23, s22
	s_addc_u32 s29, s19, s22
	s_xor_b64 s[28:29], s[28:29], s[22:23]
	s_mul_i32 s30, s28, s9
	s_mul_hi_u32 s31, s28, s3
	s_mul_hi_u32 s19, s28, s9
	s_add_u32 s30, s31, s30
	s_addc_u32 s19, 0, s19
	s_mul_hi_u32 s33, s29, s3
	s_mul_i32 s3, s29, s3
	s_add_u32 s3, s30, s3
	s_mul_hi_u32 s31, s29, s9
	s_addc_u32 s3, s19, s33
	s_addc_u32 s19, s31, 0
	s_mul_i32 s9, s29, s9
	s_add_u32 s3, s3, s9
	s_addc_u32 s9, 0, s19
	s_mul_i32 s19, s20, s9
	s_mul_hi_u32 s30, s20, s3
	s_add_i32 s19, s30, s19
	s_mul_i32 s30, s21, s3
	s_add_i32 s19, s19, s30
	s_sub_i32 s33, s29, s19
	s_mul_i32 s30, s20, s3
	s_sub_u32 s28, s28, s30
	s_cselect_b64 s[30:31], -1, 0
	s_cmp_lg_u64 s[30:31], 0
	s_subb_u32 s33, s33, s21
	s_sub_u32 s36, s28, s20
	s_cselect_b64 s[34:35], -1, 0
	s_cmp_lg_u64 s[34:35], 0
	s_subb_u32 s33, s33, 0
	s_cmp_ge_u32 s33, s21
	s_cselect_b32 s34, -1, 0
	s_cmp_ge_u32 s36, s20
	s_cselect_b32 s35, -1, 0
	s_cmp_eq_u32 s33, s21
	s_cselect_b32 s33, s35, s34
	s_add_u32 s34, s3, 1
	s_addc_u32 s35, s9, 0
	s_add_u32 s36, s3, 2
	s_addc_u32 s37, s9, 0
	s_cmp_lg_u32 s33, 0
	s_cselect_b32 s33, s36, s34
	s_cselect_b32 s34, s37, s35
	s_cmp_lg_u64 s[30:31], 0
	s_subb_u32 s19, s29, s19
	s_cmp_ge_u32 s19, s21
	s_cselect_b32 s29, -1, 0
	s_cmp_ge_u32 s28, s20
	s_cselect_b32 s20, -1, 0
	s_cmp_eq_u32 s19, s21
	s_cselect_b32 s19, s20, s29
	s_cmp_lg_u32 s19, 0
	s_cselect_b32 s21, s34, s9
	s_cselect_b32 s20, s33, s3
	s_xor_b64 s[10:11], s[22:23], s[10:11]
	s_xor_b64 s[20:21], s[20:21], s[10:11]
	s_sub_u32 s28, s20, s10
	s_subb_u32 s29, s21, s11
	s_cbranch_execnz .LBB7_5
.LBB7_4:
	v_cvt_f32_u32_e32 v1, s26
	s_sub_i32 s3, 0, s26
	s_mov_b32 s29, 0
	v_rcp_iflag_f32_e32 v1, v1
	s_nop 0
	v_mul_f32_e32 v1, 0x4f7ffffe, v1
	v_cvt_u32_f32_e32 v1, v1
	s_nop 0
	v_readfirstlane_b32 s9, v1
	s_mul_i32 s3, s3, s9
	s_mul_hi_u32 s3, s9, s3
	s_add_i32 s9, s9, s3
	s_mul_hi_u32 s3, s18, s9
	s_mul_i32 s10, s3, s26
	s_sub_i32 s10, s18, s10
	s_add_i32 s9, s3, 1
	s_sub_i32 s11, s10, s26
	s_cmp_ge_u32 s10, s26
	s_cselect_b32 s3, s9, s3
	s_cselect_b32 s10, s11, s10
	s_add_i32 s9, s3, 1
	s_cmp_ge_u32 s10, s26
	s_cselect_b32 s28, s9, s3
.LBB7_5:
	s_waitcnt lgkmcnt(0)
	v_cmp_lt_i64_e64 s[10:11], s[26:27], 1
	s_and_b64 vcc, exec, s[10:11]
	s_cbranch_vccnz .LBB7_53
; %bb.6:
	v_mov_b32_e32 v10, 0
	s_mov_b32 s9, 0
	v_bfe_u32 v8, v0, 10, 10
	v_mov_b32_e32 v9, v10
	s_lshl_b32 s8, s8, 5
	v_lshl_add_u64 v[12:13], s[8:9], 0, v[8:9]
	s_load_dwordx4 s[36:39], s[0:1], 0x0
	s_load_dwordx4 s[8:11], s[0:1], 0x68
	s_load_dwordx8 s[16:23], s[0:1], 0x38
	s_waitcnt lgkmcnt(0)
	s_load_dword s39, s[0:1], 0x58
                                        ; kill: killed $sgpr0 killed $sgpr1
	s_mul_i32 s0, s27, s2
	s_mul_hi_u32 s1, s26, s2
	s_add_i32 s31, s1, s0
	s_mul_i32 s0, s26, s27
	s_mul_hi_u32 s1, s26, s26
	s_add_i32 s1, s1, s0
	s_add_i32 s3, s1, s0
	s_cmpk_eq_i32 s37, 0x6f
	s_cselect_b64 s[46:47], -1, 0
	s_waitcnt lgkmcnt(0)
	s_cmp_lg_u32 s39, 1
	s_cselect_b64 s[48:49], -1, 0
	s_cmp_lg_u32 s38, 0
	v_cmp_gt_i64_e64 s[0:1], s[14:15], v[12:13]
	s_cselect_b64 s[14:15], -1, 0
	s_cmpk_eq_i32 s37, 0x71
	s_cselect_b64 s[40:41], -1, 0
	s_cmpk_lg_i32 s37, 0x71
	s_cselect_b64 s[38:39], -1, 0
	s_cmpk_lg_i32 s36, 0x71
	s_cselect_b64 s[42:43], -1, 0
	s_or_b64 s[36:37], s[42:43], s[38:39]
	s_and_b64 s[38:39], s[42:43], s[40:41]
	s_xor_b64 s[38:39], s[38:39], -1
	s_or_b64 s[40:41], s[42:43], s[40:41]
	s_cmp_lg_u32 s24, 1
	s_mov_b32 s70, s25
	s_cselect_b64 s[24:25], -1, 0
	v_cmp_neq_f32_e32 vcc, 0, v6
	s_xor_b64 s[4:5], s[4:5], -1
	v_and_b32_e32 v14, 0x3ff, v0
	v_mul_lo_u32 v0, s11, v12
	v_mul_lo_u32 v1, s10, v13
	v_mad_u64_u32 v[20:21], s[42:43], s10, v12, 0
	s_or_b64 s[44:45], vcc, s[4:5]
	s_xor_b64 s[4:5], s[46:47], s[48:49]
	v_add3_u32 v21, v21, v1, v0
	s_xor_b64 s[46:47], s[4:5], -1
	v_mul_lo_u32 v2, s23, v12
	v_mul_lo_u32 v3, s22, v13
	v_mad_u64_u32 v[0:1], s[4:5], s22, v12, 0
	v_lshlrev_b32_e32 v16, 3, v14
	v_add3_u32 v1, v1, v3, v2
	v_mov_b32_e32 v17, v10
	s_mul_i32 s30, s26, s2
	v_lshl_add_u64 v[0:1], v[0:1], 3, v[16:17]
	v_lshl_add_u64 v[26:27], s[20:21], 0, v[0:1]
	;; [unrolled: 1-line block ×3, first 2 shown]
	v_lshlrev_b32_e32 v2, 3, v8
	v_mov_b32_e32 v3, v10
	s_mul_i32 s33, s26, s26
	v_mul_lo_u32 v17, s26, v1
	v_mul_lo_u32 v28, s27, v0
	v_mad_u64_u32 v[0:1], s[4:5], s26, v0, v[2:3]
	s_mul_i32 s4, s33, s13
	s_mul_hi_u32 s5, s33, s12
	s_add_i32 s4, s5, s4
	s_mul_i32 s5, s3, s12
	s_add_i32 s5, s4, s5
	s_mul_i32 s4, s33, s12
	v_add3_u32 v1, v28, v1, v17
	s_lshl_b64 s[50:51], s[4:5], 3
	v_cmp_gt_i64_e64 s[4:5], s[28:29], 0
	v_or_b32_e32 v11, 0x2000, v16
	v_lshlrev_b32_e32 v30, 8, v8
	v_lshl_add_u64 v[28:29], s[18:19], 0, v[0:1]
	v_cndmask_b32_e64 v0, 0, 1, s[4:5]
	v_mov_b32_e32 v15, v10
	s_mov_b64 s[34:35], 0
	v_lshl_add_u64 v[18:19], v[12:13], 3, s[20:21]
	v_add_u32_e32 v52, 0x2000, v30
	s_and_b64 s[42:43], s[6:7], s[0:1]
	v_xor_b32_e32 v22, 0x80000000, v5
	v_xor_b32_e32 v24, 0x80000000, v7
	v_mov_b32_e32 v23, v4
	v_mov_b32_e32 v25, v6
	s_lshl_b64 s[20:21], s[26:27], 3
	s_lshl_b64 s[48:49], s[26:27], 8
	v_add_u32_e32 v17, v11, v30
	v_add_u32_e32 v53, v16, v30
	s_mov_b64 s[52:53], 0x100
	v_cmp_ne_u32_e64 s[4:5], 1, v0
	v_add_u32_e32 v54, 0x400, v16
	v_add_u32_e32 v55, 0x800, v16
	;; [unrolled: 1-line block ×6, first 2 shown]
	s_branch .LBB7_8
.LBB7_7:                                ;   in Loop: Header=BB7_8 Depth=1
	s_or_b64 exec, exec, s[6:7]
	s_add_u32 s34, s34, 32
	s_addc_u32 s35, s35, 0
	v_mov_b64_e32 v[0:1], s[26:27]
	v_cmp_lt_i64_e32 vcc, s[34:35], v[0:1]
	v_lshl_add_u64 v[28:29], v[28:29], 0, s[48:49]
	s_cbranch_vccz .LBB7_53
.LBB7_8:                                ; =>This Loop Header: Depth=1
                                        ;     Child Loop BB7_11 Depth 2
                                        ;       Child Loop BB7_14 Depth 3
	v_lshl_add_u64 v[30:31], s[34:35], 0, v[14:15]
	s_and_b64 vcc, exec, s[4:5]
	v_cmp_gt_i64_e64 s[6:7], s[26:27], v[30:31]
	s_cbranch_vccnz .LBB7_43
; %bb.9:                                ;   in Loop: Header=BB7_8 Depth=1
	v_mov_b32_e32 v11, v10
	v_lshl_add_u64 v[32:33], v[30:31], 3, s[18:19]
	s_mov_b64 s[54:55], 0
	v_mov_b64_e32 v[34:35], v[28:29]
	v_mov_b64_e32 v[42:43], v[10:11]
	s_branch .LBB7_11
.LBB7_10:                               ;   in Loop: Header=BB7_11 Depth=2
	s_add_u32 s54, s54, 1
	s_addc_u32 s55, s55, 0
	s_cmp_eq_u64 s[54:55], s[28:29]
	v_lshl_add_u64 v[34:35], v[34:35], 0, s[50:51]
	s_cbranch_scc1 .LBB7_44
.LBB7_11:                               ;   Parent Loop BB7_8 Depth=1
                                        ; =>  This Loop Header: Depth=2
                                        ;       Child Loop BB7_14 Depth 3
	s_mul_i32 s56, s54, s13
	s_mul_hi_u32 s57, s54, s12
	s_add_i32 s56, s57, s56
	s_mul_i32 s57, s55, s12
	s_add_i32 s57, s56, s57
	s_mul_i32 s56, s54, s12
	s_add_u32 s56, s56, s2
	s_addc_u32 s57, s57, 0
	s_mul_i32 s58, s33, s57
	s_mul_hi_u32 s59, s33, s56
	s_add_i32 s58, s59, s58
	s_mul_i32 s59, s3, s56
	s_add_i32 s59, s58, s59
	s_lshl_b64 s[60:61], s[56:57], 3
	s_add_u32 s60, s16, s60
	s_addc_u32 s61, s17, s61
	s_load_dwordx2 s[60:61], s[60:61], 0x0
	s_mul_i32 s58, s33, s56
	v_lshl_add_u64 v[36:37], s[58:59], 3, v[32:33]
	v_mov_b64_e32 v[40:41], v[34:35]
	s_waitcnt lgkmcnt(0)
	s_sub_u32 s60, s60, s70
	s_subb_u32 s61, s61, 0
	s_mul_i32 s56, s60, s27
	s_mul_hi_u32 s57, s60, s26
	s_mul_i32 s58, s21, s60
	s_mul_i32 s59, s20, s61
	v_mov_b32_e32 v0, s60
	s_add_i32 s56, s57, s56
	s_mul_i32 s57, s61, s26
	s_add_i32 s62, s59, s58
	v_mad_u64_u32 v[38:39], s[58:59], s20, v0, v[26:27]
	s_add_i32 s57, s56, s57
	s_mul_i32 s56, s60, s26
	v_add_u32_e32 v39, s62, v39
	v_cmp_gt_i64_e64 s[58:59], s[60:61], -1
	s_mov_b64 s[60:61], 0
	s_branch .LBB7_14
.LBB7_12:                               ;   in Loop: Header=BB7_14 Depth=3
	v_mov_b64_e32 v[42:43], v[50:51]
.LBB7_13:                               ;   in Loop: Header=BB7_14 Depth=3
	s_add_u32 s60, s60, 32
	s_addc_u32 s61, s61, 0
	v_mov_b64_e32 v[0:1], s[26:27]
	v_cmp_ge_i64_e32 vcc, s[60:61], v[0:1]
	v_lshl_add_u64 v[38:39], v[38:39], 0, s[52:53]
	v_lshl_add_u64 v[40:41], v[40:41], 0, s[52:53]
	s_barrier
	s_cbranch_vccnz .LBB7_10
.LBB7_14:                               ;   Parent Loop BB7_8 Depth=1
                                        ;     Parent Loop BB7_11 Depth=2
                                        ; =>    This Inner Loop Header: Depth=3
	v_lshl_add_u64 v[2:3], s[60:61], 0, v[14:15]
	v_cmp_gt_i64_e32 vcc, s[26:27], v[2:3]
	s_and_b64 s[62:63], s[0:1], vcc
	s_and_b64 s[64:65], s[62:63], s[58:59]
	s_and_b64 vcc, exec, s[46:47]
	s_cbranch_vccz .LBB7_18
; %bb.15:                               ;   in Loop: Header=BB7_14 Depth=3
	s_mov_b64 s[66:67], 0
	s_mov_b64 s[62:63], 0
                                        ; implicit-def: $vgpr0_vgpr1
	s_and_saveexec_b64 s[68:69], s[64:65]
	s_xor_b64 s[68:69], exec, s[68:69]
; %bb.16:                               ;   in Loop: Header=BB7_14 Depth=3
	v_lshl_add_u64 v[0:1], v[2:3], 0, s[56:57]
	v_mul_lo_u32 v2, v1, s22
	v_mul_lo_u32 v3, v0, s23
	v_mad_u64_u32 v[0:1], s[72:73], v0, s22, 0
	v_add3_u32 v1, v1, v3, v2
	s_mov_b64 s[62:63], exec
	v_lshl_add_u64 v[0:1], v[0:1], 3, v[18:19]
; %bb.17:                               ;   in Loop: Header=BB7_14 Depth=3
	s_or_b64 exec, exec, s[68:69]
	s_and_b64 vcc, exec, s[66:67]
	s_cbranch_vccnz .LBB7_19
	s_branch .LBB7_20
.LBB7_18:                               ;   in Loop: Header=BB7_14 Depth=3
	s_mov_b64 s[62:63], 0
                                        ; implicit-def: $vgpr0_vgpr1
	s_cbranch_execz .LBB7_20
.LBB7_19:                               ;   in Loop: Header=BB7_14 Depth=3
	s_andn2_b64 s[62:63], s[62:63], exec
	s_and_b64 s[64:65], s[64:65], exec
	s_or_b64 s[62:63], s[62:63], s[64:65]
	v_mov_b64_e32 v[0:1], v[38:39]
.LBB7_20:                               ;   in Loop: Header=BB7_14 Depth=3
	v_mov_b32_e32 v44, 0
	v_mov_b32_e32 v45, 0
	s_and_saveexec_b64 s[64:65], s[62:63]
	s_cbranch_execz .LBB7_22
; %bb.21:                               ;   in Loop: Header=BB7_14 Depth=3
	global_load_dwordx2 v[44:45], v[0:1], off
.LBB7_22:                               ;   in Loop: Header=BB7_14 Depth=3
	s_or_b64 exec, exec, s[64:65]
	v_lshl_add_u64 v[2:3], s[60:61], 0, v[8:9]
	v_cmp_gt_i64_e32 vcc, s[26:27], v[2:3]
	s_and_b64 s[62:63], s[6:7], vcc
	s_and_b64 s[64:65], s[62:63], s[58:59]
	s_and_b64 vcc, exec, s[14:15]
	s_waitcnt vmcnt(0)
	ds_write_b64 v17, v[44:45]
	s_cbranch_vccz .LBB7_42
; %bb.23:                               ;   in Loop: Header=BB7_14 Depth=3
	s_mov_b64 s[66:67], 0
	s_mov_b64 s[62:63], 0
                                        ; implicit-def: $vgpr0_vgpr1
	s_and_saveexec_b64 s[68:69], s[64:65]
	s_xor_b64 s[68:69], exec, s[68:69]
; %bb.24:                               ;   in Loop: Header=BB7_14 Depth=3
	v_mul_lo_u32 v3, v3, s26
	v_mul_lo_u32 v11, v2, s27
	v_mad_u64_u32 v[0:1], s[72:73], v2, s26, 0
	v_add3_u32 v1, v1, v11, v3
	s_mov_b64 s[62:63], exec
	v_lshl_add_u64 v[0:1], v[0:1], 3, v[36:37]
; %bb.25:                               ;   in Loop: Header=BB7_14 Depth=3
	s_or_b64 exec, exec, s[68:69]
	s_and_b64 vcc, exec, s[66:67]
	s_cbranch_vccz .LBB7_27
.LBB7_26:                               ;   in Loop: Header=BB7_14 Depth=3
	s_andn2_b64 s[62:63], s[62:63], exec
	s_and_b64 s[64:65], s[64:65], exec
	s_or_b64 s[62:63], s[62:63], s[64:65]
	v_mov_b64_e32 v[0:1], v[40:41]
.LBB7_27:                               ;   in Loop: Header=BB7_14 Depth=3
	v_mov_b32_e32 v2, 0
	v_mov_b32_e32 v3, 0
	s_and_saveexec_b64 s[64:65], s[62:63]
	s_cbranch_execz .LBB7_29
; %bb.28:                               ;   in Loop: Header=BB7_14 Depth=3
	global_load_dwordx2 v[2:3], v[0:1], off
.LBB7_29:                               ;   in Loop: Header=BB7_14 Depth=3
	s_or_b64 exec, exec, s[64:65]
	s_andn2_b64 vcc, exec, s[58:59]
	s_waitcnt vmcnt(0)
	ds_write_b64 v53, v[2:3]
	s_waitcnt lgkmcnt(0)
	s_barrier
	s_cbranch_vccnz .LBB7_13
; %bb.30:                               ;   in Loop: Header=BB7_14 Depth=3
	s_mov_b64 s[62:63], -1
	s_and_b64 vcc, exec, s[36:37]
                                        ; implicit-def: $vgpr50_vgpr51
	s_cbranch_vccz .LBB7_40
; %bb.31:                               ;   in Loop: Header=BB7_14 Depth=3
	s_and_b64 vcc, exec, s[38:39]
                                        ; implicit-def: $vgpr50_vgpr51
	s_cbranch_vccz .LBB7_37
; %bb.32:                               ;   in Loop: Header=BB7_14 Depth=3
	ds_read2_b64 v[0:3], v16 offset1:32
	ds_read_b64 v[44:45], v16 offset:512
	s_andn2_b64 vcc, exec, s[40:41]
                                        ; implicit-def: $vgpr50_vgpr51
	s_waitcnt lgkmcnt(1)
	v_xor_b32_e32 v48, 0x80000000, v3
	s_waitcnt lgkmcnt(0)
	v_xor_b32_e32 v46, 0x80000000, v45
	s_cbranch_vccnz .LBB7_34
; %bb.33:                               ;   in Loop: Header=BB7_14 Depth=3
	ds_read_b128 v[60:63], v52
	ds_read_b128 v[64:67], v52 offset:16
	ds_read_b128 v[68:71], v52 offset:32
	;; [unrolled: 1-line block ×3, first 2 shown]
	v_xor_b32_e32 v50, 0x80000000, v1
	s_waitcnt lgkmcnt(3)
	v_pk_fma_f32 v[76:77], v[0:1], v[60:61], v[42:43] op_sel_hi:[1,0,1]
	v_mov_b32_e32 v51, v0
	v_pk_fma_f32 v[50:51], v[50:51], v[60:61], v[76:77] op_sel:[0,1,0]
	v_mov_b32_e32 v76, v63
	v_pk_fma_f32 v[50:51], v[2:3], v[62:63], v[50:51] op_sel_hi:[1,0,1]
	ds_read2_b64 v[60:63], v16 offset0:96 offset1:128
	v_mov_b32_e32 v49, v2
	v_pk_fma_f32 v[50:51], v[48:49], v[76:77], v[50:51] op_sel_hi:[1,0,1]
	v_mov_b32_e32 v47, v44
	s_waitcnt lgkmcnt(3)
	v_pk_fma_f32 v[50:51], v[44:45], v[64:65], v[50:51] op_sel_hi:[1,0,1]
	s_mov_b64 s[62:63], 0
	v_pk_fma_f32 v[50:51], v[46:47], v[64:65], v[50:51] op_sel:[0,1,0]
	s_waitcnt lgkmcnt(0)
	v_xor_b32_e32 v64, 0x80000000, v61
	v_pk_fma_f32 v[50:51], v[60:61], v[66:67], v[50:51] op_sel_hi:[1,0,1]
	v_mov_b32_e32 v65, v60
	v_mov_b32_e32 v60, v67
	v_pk_fma_f32 v[50:51], v[64:65], v[60:61], v[50:51] op_sel_hi:[1,0,1]
	ds_read2_b64 v[64:67], v16 offset0:160 offset1:192
	v_xor_b32_e32 v60, 0x80000000, v63
	v_pk_fma_f32 v[50:51], v[62:63], v[68:69], v[50:51] op_sel_hi:[1,0,1]
	v_mov_b32_e32 v61, v62
	v_pk_fma_f32 v[50:51], v[60:61], v[68:69], v[50:51] op_sel:[0,1,0]
	s_waitcnt lgkmcnt(0)
	v_xor_b32_e32 v68, 0x80000000, v65
	v_pk_fma_f32 v[50:51], v[64:65], v[70:71], v[50:51] op_sel_hi:[1,0,1]
	v_mov_b32_e32 v69, v64
	v_mov_b32_e32 v64, v71
	ds_read_b128 v[60:63], v52 offset:64
	ds_read_b128 v[76:79], v52 offset:80
	v_pk_fma_f32 v[50:51], v[68:69], v[64:65], v[50:51] op_sel_hi:[1,0,1]
	ds_read2_b64 v[68:71], v54 offset0:96 offset1:128
	v_xor_b32_e32 v64, 0x80000000, v67
	v_pk_fma_f32 v[50:51], v[66:67], v[72:73], v[50:51] op_sel_hi:[1,0,1]
	v_mov_b32_e32 v65, v66
	v_pk_fma_f32 v[50:51], v[64:65], v[72:73], v[50:51] op_sel:[0,1,0]
	s_waitcnt lgkmcnt(0)
	v_xor_b32_e32 v64, 0x80000000, v69
	v_pk_fma_f32 v[50:51], v[68:69], v[74:75], v[50:51] op_sel_hi:[1,0,1]
	v_mov_b32_e32 v65, v68
	v_mov_b32_e32 v66, v75
	v_pk_fma_f32 v[50:51], v[64:65], v[66:67], v[50:51] op_sel_hi:[1,0,1]
	ds_read2_b64 v[64:67], v55 offset0:32 offset1:64
	v_xor_b32_e32 v68, 0x80000000, v71
	v_pk_fma_f32 v[50:51], v[70:71], v[60:61], v[50:51] op_sel_hi:[1,0,1]
	v_mov_b32_e32 v69, v70
	v_pk_fma_f32 v[50:51], v[68:69], v[60:61], v[50:51] op_sel:[0,1,0]
	s_waitcnt lgkmcnt(0)
	v_xor_b32_e32 v60, 0x80000000, v65
	v_pk_fma_f32 v[50:51], v[64:65], v[62:63], v[50:51] op_sel_hi:[1,0,1]
	v_mov_b32_e32 v61, v64
	v_mov_b32_e32 v62, v63
	v_pk_fma_f32 v[50:51], v[60:61], v[62:63], v[50:51] op_sel_hi:[1,0,1]
	ds_read2_b64 v[60:63], v55 offset0:96 offset1:128
	ds_read_b128 v[68:71], v52 offset:96
	ds_read_b128 v[72:75], v52 offset:112
	v_xor_b32_e32 v64, 0x80000000, v67
	v_pk_fma_f32 v[50:51], v[66:67], v[76:77], v[50:51] op_sel_hi:[1,0,1]
	v_mov_b32_e32 v65, v66
	v_pk_fma_f32 v[50:51], v[64:65], v[76:77], v[50:51] op_sel:[0,1,0]
	s_waitcnt lgkmcnt(2)
	v_xor_b32_e32 v64, 0x80000000, v61
	v_pk_fma_f32 v[50:51], v[60:61], v[78:79], v[50:51] op_sel_hi:[1,0,1]
	v_mov_b32_e32 v65, v60
	v_mov_b32_e32 v60, v79
	v_pk_fma_f32 v[50:51], v[64:65], v[60:61], v[50:51] op_sel_hi:[1,0,1]
	ds_read2_b64 v[64:67], v55 offset0:160 offset1:192
	v_xor_b32_e32 v60, 0x80000000, v63
	s_waitcnt lgkmcnt(2)
	v_pk_fma_f32 v[50:51], v[62:63], v[68:69], v[50:51] op_sel_hi:[1,0,1]
	v_mov_b32_e32 v61, v62
	v_pk_fma_f32 v[50:51], v[60:61], v[68:69], v[50:51] op_sel:[0,1,0]
	s_waitcnt lgkmcnt(0)
	v_xor_b32_e32 v60, 0x80000000, v65
	v_pk_fma_f32 v[50:51], v[64:65], v[70:71], v[50:51] op_sel_hi:[1,0,1]
	v_mov_b32_e32 v61, v64
	v_mov_b32_e32 v62, v71
	v_pk_fma_f32 v[50:51], v[60:61], v[62:63], v[50:51] op_sel_hi:[1,0,1]
	ds_read2_b64 v[60:63], v56 offset0:96 offset1:128
	v_xor_b32_e32 v64, 0x80000000, v67
	v_pk_fma_f32 v[50:51], v[66:67], v[72:73], v[50:51] op_sel_hi:[1,0,1]
	v_mov_b32_e32 v65, v66
	v_pk_fma_f32 v[50:51], v[64:65], v[72:73], v[50:51] op_sel:[0,1,0]
	s_waitcnt lgkmcnt(0)
	v_xor_b32_e32 v64, 0x80000000, v61
	v_pk_fma_f32 v[50:51], v[60:61], v[74:75], v[50:51] op_sel_hi:[1,0,1]
	v_mov_b32_e32 v65, v60
	v_mov_b32_e32 v60, v75
	v_pk_fma_f32 v[50:51], v[64:65], v[60:61], v[50:51] op_sel_hi:[1,0,1]
	ds_read_b128 v[64:67], v52 offset:128
	ds_read_b128 v[68:71], v52 offset:144
	;; [unrolled: 1-line block ×3, first 2 shown]
	ds_read2_b64 v[76:79], v57 offset0:32 offset1:64
	v_xor_b32_e32 v60, 0x80000000, v63
	s_waitcnt lgkmcnt(3)
	v_pk_fma_f32 v[50:51], v[62:63], v[64:65], v[50:51] op_sel_hi:[1,0,1]
	v_mov_b32_e32 v61, v62
	v_pk_fma_f32 v[50:51], v[60:61], v[64:65], v[50:51] op_sel:[0,1,0]
	s_waitcnt lgkmcnt(0)
	v_xor_b32_e32 v60, 0x80000000, v77
	v_pk_fma_f32 v[50:51], v[76:77], v[66:67], v[50:51] op_sel_hi:[1,0,1]
	v_mov_b32_e32 v61, v76
	v_mov_b32_e32 v62, v67
	v_pk_fma_f32 v[50:51], v[60:61], v[62:63], v[50:51] op_sel_hi:[1,0,1]
	ds_read2_b64 v[60:63], v57 offset0:96 offset1:128
	v_xor_b32_e32 v64, 0x80000000, v79
	v_pk_fma_f32 v[50:51], v[78:79], v[68:69], v[50:51] op_sel_hi:[1,0,1]
	v_mov_b32_e32 v65, v78
	v_pk_fma_f32 v[50:51], v[64:65], v[68:69], v[50:51] op_sel:[0,1,0]
	s_waitcnt lgkmcnt(0)
	v_xor_b32_e32 v64, 0x80000000, v61
	v_pk_fma_f32 v[50:51], v[60:61], v[70:71], v[50:51] op_sel_hi:[1,0,1]
	v_mov_b32_e32 v65, v60
	v_mov_b32_e32 v60, v71
	v_pk_fma_f32 v[50:51], v[64:65], v[60:61], v[50:51] op_sel_hi:[1,0,1]
	ds_read2_b64 v[64:67], v57 offset0:160 offset1:192
	ds_read_b128 v[68:71], v52 offset:176
	v_xor_b32_e32 v60, 0x80000000, v63
	v_pk_fma_f32 v[50:51], v[62:63], v[72:73], v[50:51] op_sel_hi:[1,0,1]
	v_mov_b32_e32 v61, v62
	v_pk_fma_f32 v[50:51], v[60:61], v[72:73], v[50:51] op_sel:[0,1,0]
	s_waitcnt lgkmcnt(1)
	v_xor_b32_e32 v72, 0x80000000, v65
	v_pk_fma_f32 v[50:51], v[64:65], v[74:75], v[50:51] op_sel_hi:[1,0,1]
	v_mov_b32_e32 v73, v64
	v_mov_b32_e32 v64, v75
	ds_read_b128 v[60:63], v52 offset:192
	ds_read_b128 v[76:79], v52 offset:208
	v_pk_fma_f32 v[50:51], v[72:73], v[64:65], v[50:51] op_sel_hi:[1,0,1]
	ds_read2_b64 v[72:75], v58 offset0:96 offset1:128
	v_xor_b32_e32 v64, 0x80000000, v67
	s_waitcnt lgkmcnt(3)
	v_pk_fma_f32 v[50:51], v[66:67], v[68:69], v[50:51] op_sel_hi:[1,0,1]
	v_mov_b32_e32 v65, v66
	v_pk_fma_f32 v[50:51], v[64:65], v[68:69], v[50:51] op_sel:[0,1,0]
	s_waitcnt lgkmcnt(0)
	v_xor_b32_e32 v64, 0x80000000, v73
	v_pk_fma_f32 v[50:51], v[72:73], v[70:71], v[50:51] op_sel_hi:[1,0,1]
	v_mov_b32_e32 v65, v72
	v_mov_b32_e32 v66, v71
	v_pk_fma_f32 v[50:51], v[64:65], v[66:67], v[50:51] op_sel_hi:[1,0,1]
	ds_read2_b64 v[64:67], v59 offset0:32 offset1:64
	v_xor_b32_e32 v68, 0x80000000, v75
	v_pk_fma_f32 v[50:51], v[74:75], v[60:61], v[50:51] op_sel_hi:[1,0,1]
	v_mov_b32_e32 v69, v74
	v_pk_fma_f32 v[50:51], v[68:69], v[60:61], v[50:51] op_sel:[0,1,0]
	s_waitcnt lgkmcnt(0)
	v_xor_b32_e32 v60, 0x80000000, v65
	v_pk_fma_f32 v[50:51], v[64:65], v[62:63], v[50:51] op_sel_hi:[1,0,1]
	v_mov_b32_e32 v61, v64
	v_mov_b32_e32 v62, v63
	v_pk_fma_f32 v[50:51], v[60:61], v[62:63], v[50:51] op_sel_hi:[1,0,1]
	ds_read2_b64 v[60:63], v59 offset0:96 offset1:128
	v_xor_b32_e32 v64, 0x80000000, v67
	v_pk_fma_f32 v[50:51], v[66:67], v[76:77], v[50:51] op_sel_hi:[1,0,1]
	v_mov_b32_e32 v65, v66
	v_pk_fma_f32 v[50:51], v[64:65], v[76:77], v[50:51] op_sel:[0,1,0]
	ds_read_b128 v[64:67], v52 offset:224
	ds_read_b128 v[68:71], v52 offset:240
	s_waitcnt lgkmcnt(2)
	v_xor_b32_e32 v72, 0x80000000, v61
	v_pk_fma_f32 v[50:51], v[60:61], v[78:79], v[50:51] op_sel_hi:[1,0,1]
	v_mov_b32_e32 v73, v60
	v_mov_b32_e32 v60, v79
	v_pk_fma_f32 v[50:51], v[72:73], v[60:61], v[50:51] op_sel_hi:[1,0,1]
	ds_read2_b64 v[72:75], v59 offset0:160 offset1:192
	v_xor_b32_e32 v60, 0x80000000, v63
	s_waitcnt lgkmcnt(2)
	v_pk_fma_f32 v[50:51], v[62:63], v[64:65], v[50:51] op_sel_hi:[1,0,1]
	v_mov_b32_e32 v61, v62
	v_pk_fma_f32 v[50:51], v[60:61], v[64:65], v[50:51] op_sel:[0,1,0]
	s_waitcnt lgkmcnt(0)
	v_xor_b32_e32 v60, 0x80000000, v73
	v_pk_fma_f32 v[50:51], v[72:73], v[66:67], v[50:51] op_sel_hi:[1,0,1]
	v_mov_b32_e32 v61, v72
	v_mov_b32_e32 v62, v67
	v_pk_fma_f32 v[50:51], v[60:61], v[62:63], v[50:51] op_sel_hi:[1,0,1]
	ds_read_b64 v[60:61], v16 offset:7936
	v_xor_b32_e32 v62, 0x80000000, v75
	v_pk_fma_f32 v[50:51], v[74:75], v[68:69], v[50:51] op_sel_hi:[1,0,1]
	v_mov_b32_e32 v63, v74
	v_pk_fma_f32 v[50:51], v[62:63], v[68:69], v[50:51] op_sel:[0,1,0]
	s_waitcnt lgkmcnt(0)
	v_xor_b32_e32 v62, 0x80000000, v61
	v_pk_fma_f32 v[50:51], v[60:61], v[70:71], v[50:51] op_sel_hi:[1,0,1]
	v_mov_b32_e32 v63, v60
	v_mov_b32_e32 v60, v71
	v_pk_fma_f32 v[50:51], v[62:63], v[60:61], v[50:51] op_sel_hi:[1,0,1]
.LBB7_34:                               ;   in Loop: Header=BB7_14 Depth=3
	s_andn2_b64 vcc, exec, s[62:63]
	s_cbranch_vccnz .LBB7_36
; %bb.35:                               ;   in Loop: Header=BB7_14 Depth=3
	ds_read_b128 v[60:63], v52
	ds_read_b128 v[64:67], v52 offset:16
	ds_read_b128 v[68:71], v52 offset:32
	;; [unrolled: 1-line block ×3, first 2 shown]
	v_pk_add_f32 v[50:51], v[0:1], 0 neg_lo:[1,1] neg_hi:[1,1]
	v_mov_b32_e32 v49, v2
	v_mov_b32_e32 v50, v0
	s_waitcnt lgkmcnt(3)
	v_pk_fma_f32 v[50:51], v[50:51], v[60:61], v[42:43] op_sel_hi:[1,0,1]
	v_mov_b32_e32 v47, v44
	v_pk_fma_f32 v[0:1], v[0:1], v[60:61], v[50:51] op_sel:[0,1,1] op_sel_hi:[1,1,0]
	v_mov_b32_e32 v60, v63
	v_pk_fma_f32 v[0:1], v[48:49], v[62:63], v[0:1] op_sel_hi:[1,0,1]
	ds_read2_b64 v[48:51], v16 offset0:96 offset1:128
	v_pk_fma_f32 v[0:1], v[2:3], v[60:61], v[0:1] op_sel_hi:[1,0,1]
	s_waitcnt lgkmcnt(0)
	v_xor_b32_e32 v2, 0x80000000, v49
	v_pk_fma_f32 v[0:1], v[46:47], v[64:65], v[0:1] op_sel_hi:[1,0,1]
	v_mov_b32_e32 v3, v48
	v_pk_fma_f32 v[0:1], v[44:45], v[64:65], v[0:1] op_sel:[0,1,0]
	s_nop 0
	v_pk_fma_f32 v[0:1], v[2:3], v[66:67], v[0:1] op_sel_hi:[1,0,1]
	v_mov_b32_e32 v2, v67
	v_pk_fma_f32 v[0:1], v[48:49], v[2:3], v[0:1] op_sel_hi:[1,0,1]
	v_xor_b32_e32 v2, 0x80000000, v51
	v_mov_b32_e32 v3, v50
	v_pk_fma_f32 v[0:1], v[2:3], v[68:69], v[0:1] op_sel_hi:[1,0,1]
	s_nop 0
	v_pk_fma_f32 v[68:69], v[50:51], v[68:69], v[0:1] op_sel:[0,1,0]
	ds_read2_b64 v[0:3], v55 offset0:32 offset1:64
	ds_read2_b64 v[44:47], v16 offset0:160 offset1:192
	ds_read_b128 v[48:51], v52 offset:64
	ds_read_b128 v[60:63], v52 offset:80
	;; [unrolled: 1-line block ×4, first 2 shown]
	s_waitcnt lgkmcnt(4)
	v_xor_b32_e32 v82, 0x80000000, v45
	v_mov_b32_e32 v83, v44
	v_pk_fma_f32 v[68:69], v[82:83], v[70:71], v[68:69] op_sel_hi:[1,0,1]
	v_mov_b32_e32 v70, v71
	v_pk_fma_f32 v[44:45], v[44:45], v[70:71], v[68:69] op_sel_hi:[1,0,1]
	ds_read2_b64 v[68:71], v54 offset0:96 offset1:128
	v_xor_b32_e32 v82, 0x80000000, v47
	v_mov_b32_e32 v83, v46
	v_pk_fma_f32 v[44:45], v[82:83], v[72:73], v[44:45] op_sel_hi:[1,0,1]
	v_xor_b32_e32 v80, 0x80000000, v3
	v_pk_fma_f32 v[44:45], v[46:47], v[72:73], v[44:45] op_sel:[0,1,0]
	s_waitcnt lgkmcnt(0)
	v_xor_b32_e32 v46, 0x80000000, v69
	v_mov_b32_e32 v47, v68
	v_pk_fma_f32 v[44:45], v[46:47], v[74:75], v[44:45] op_sel_hi:[1,0,1]
	v_mov_b32_e32 v46, v75
	v_pk_fma_f32 v[44:45], v[68:69], v[46:47], v[44:45] op_sel_hi:[1,0,1]
	v_xor_b32_e32 v46, 0x80000000, v71
	v_mov_b32_e32 v47, v70
	v_pk_fma_f32 v[44:45], v[46:47], v[48:49], v[44:45] op_sel_hi:[1,0,1]
	v_xor_b32_e32 v46, 0x80000000, v1
	v_pk_fma_f32 v[44:45], v[70:71], v[48:49], v[44:45] op_sel:[0,1,0]
	v_mov_b32_e32 v47, v0
	v_pk_fma_f32 v[48:49], v[46:47], v[50:51], v[44:45] op_sel_hi:[1,0,1]
	ds_read2_b64 v[44:47], v55 offset0:96 offset1:128
	v_mov_b32_e32 v50, v51
	v_pk_fma_f32 v[0:1], v[0:1], v[50:51], v[48:49] op_sel_hi:[1,0,1]
	v_mov_b32_e32 v81, v2
	v_pk_fma_f32 v[0:1], v[80:81], v[60:61], v[0:1] op_sel_hi:[1,0,1]
	s_waitcnt lgkmcnt(0)
	v_xor_b32_e32 v48, 0x80000000, v47
	v_pk_fma_f32 v[0:1], v[2:3], v[60:61], v[0:1] op_sel:[0,1,0]
	v_xor_b32_e32 v2, 0x80000000, v45
	v_mov_b32_e32 v3, v44
	v_pk_fma_f32 v[0:1], v[2:3], v[62:63], v[0:1] op_sel_hi:[1,0,1]
	v_mov_b32_e32 v2, v63
	v_pk_fma_f32 v[44:45], v[44:45], v[2:3], v[0:1] op_sel_hi:[1,0,1]
	ds_read2_b64 v[0:3], v55 offset0:160 offset1:192
	v_mov_b32_e32 v49, v46
	v_pk_fma_f32 v[44:45], v[48:49], v[64:65], v[44:45] op_sel_hi:[1,0,1]
	s_waitcnt lgkmcnt(0)
	v_xor_b32_e32 v48, 0x80000000, v3
	v_pk_fma_f32 v[44:45], v[46:47], v[64:65], v[44:45] op_sel:[0,1,0]
	v_xor_b32_e32 v46, 0x80000000, v1
	v_mov_b32_e32 v47, v0
	v_pk_fma_f32 v[44:45], v[46:47], v[66:67], v[44:45] op_sel_hi:[1,0,1]
	v_mov_b32_e32 v46, v67
	v_pk_fma_f32 v[0:1], v[0:1], v[46:47], v[44:45] op_sel_hi:[1,0,1]
	ds_read2_b64 v[44:47], v56 offset0:96 offset1:128
	v_mov_b32_e32 v49, v2
	v_pk_fma_f32 v[0:1], v[48:49], v[76:77], v[0:1] op_sel_hi:[1,0,1]
	s_waitcnt lgkmcnt(0)
	v_xor_b32_e32 v86, 0x80000000, v47
	v_pk_fma_f32 v[0:1], v[2:3], v[76:77], v[0:1] op_sel:[0,1,0]
	v_xor_b32_e32 v2, 0x80000000, v45
	v_mov_b32_e32 v3, v44
	v_pk_fma_f32 v[0:1], v[2:3], v[78:79], v[0:1] op_sel_hi:[1,0,1]
	v_mov_b32_e32 v2, v79
	v_pk_fma_f32 v[44:45], v[44:45], v[2:3], v[0:1] op_sel_hi:[1,0,1]
	ds_read_b128 v[0:3], v52 offset:128
	ds_read_b128 v[48:51], v52 offset:144
	ds_read2_b64 v[60:63], v57 offset0:160 offset1:192
	ds_read_b128 v[64:67], v52 offset:160
	ds_read_b128 v[68:71], v52 offset:176
	;; [unrolled: 1-line block ×4, first 2 shown]
	ds_read2_b64 v[80:83], v57 offset0:32 offset1:64
	v_mov_b32_e32 v87, v46
	s_waitcnt lgkmcnt(7)
	v_pk_fma_f32 v[44:45], v[86:87], v[0:1], v[44:45] op_sel_hi:[1,0,1]
	s_waitcnt lgkmcnt(5)
	v_xor_b32_e32 v84, 0x80000000, v61
	v_pk_fma_f32 v[0:1], v[46:47], v[0:1], v[44:45] op_sel:[0,1,0]
	s_waitcnt lgkmcnt(0)
	v_xor_b32_e32 v44, 0x80000000, v81
	v_mov_b32_e32 v45, v80
	v_pk_fma_f32 v[0:1], v[44:45], v[2:3], v[0:1] op_sel_hi:[1,0,1]
	v_mov_b32_e32 v2, v3
	v_pk_fma_f32 v[44:45], v[80:81], v[2:3], v[0:1] op_sel_hi:[1,0,1]
	ds_read2_b64 v[0:3], v57 offset0:96 offset1:128
	v_xor_b32_e32 v46, 0x80000000, v83
	v_mov_b32_e32 v47, v82
	v_pk_fma_f32 v[44:45], v[46:47], v[48:49], v[44:45] op_sel_hi:[1,0,1]
	v_mov_b32_e32 v85, v60
	v_pk_fma_f32 v[44:45], v[82:83], v[48:49], v[44:45] op_sel:[0,1,0]
	s_waitcnt lgkmcnt(0)
	v_xor_b32_e32 v46, 0x80000000, v1
	v_mov_b32_e32 v47, v0
	v_pk_fma_f32 v[44:45], v[46:47], v[50:51], v[44:45] op_sel_hi:[1,0,1]
	v_mov_b32_e32 v46, v51
	v_pk_fma_f32 v[0:1], v[0:1], v[46:47], v[44:45] op_sel_hi:[1,0,1]
	v_xor_b32_e32 v44, 0x80000000, v3
	v_mov_b32_e32 v45, v2
	v_pk_fma_f32 v[0:1], v[44:45], v[64:65], v[0:1] op_sel_hi:[1,0,1]
	v_xor_b32_e32 v47, 0x80000000, v63
	v_pk_fma_f32 v[0:1], v[2:3], v[64:65], v[0:1] op_sel:[0,1,0]
	v_mov_b32_e32 v2, v67
	v_pk_fma_f32 v[0:1], v[84:85], v[66:67], v[0:1] op_sel_hi:[1,0,1]
	v_mov_b32_e32 v46, v62
	v_pk_fma_f32 v[44:45], v[60:61], v[2:3], v[0:1] op_sel_hi:[1,0,1]
	ds_read2_b64 v[0:3], v58 offset0:96 offset1:128
	v_pk_fma_f32 v[44:45], v[46:47], v[68:69], v[44:45] op_sel:[0,0,1] op_sel_hi:[1,0,0]
	s_waitcnt lgkmcnt(0)
	v_xor_b32_e32 v47, 0x80000000, v1
	v_pk_fma_f32 v[44:45], v[62:63], v[68:69], v[44:45] op_sel:[1,1,0] op_sel_hi:[0,1,1]
	v_mov_b32_e32 v46, v0
	v_pk_fma_f32 v[44:45], v[46:47], v[70:71], v[44:45] op_sel_hi:[1,0,1]
	v_mov_b32_e32 v46, v71
	v_pk_fma_f32 v[0:1], v[0:1], v[46:47], v[44:45] op_sel:[1,0,0] op_sel_hi:[0,0,1]
	ds_read2_b64 v[44:47], v59 offset0:32 offset1:64
	v_xor_b32_e32 v49, 0x80000000, v3
	v_mov_b32_e32 v48, v2
	v_pk_fma_f32 v[0:1], v[48:49], v[72:73], v[0:1] op_sel_hi:[1,0,1]
	s_waitcnt lgkmcnt(0)
	v_xor_b32_e32 v49, 0x80000000, v47
	v_pk_fma_f32 v[0:1], v[2:3], v[72:73], v[0:1] op_sel:[1,1,0] op_sel_hi:[0,1,1]
	v_xor_b32_e32 v3, 0x80000000, v45
	v_mov_b32_e32 v2, v44
	v_pk_fma_f32 v[0:1], v[2:3], v[74:75], v[0:1] op_sel_hi:[1,0,1]
	v_mov_b32_e32 v2, v75
	v_pk_fma_f32 v[44:45], v[44:45], v[2:3], v[0:1] op_sel:[1,0,0] op_sel_hi:[0,0,1]
	ds_read2_b64 v[0:3], v59 offset0:96 offset1:128
	v_mov_b32_e32 v48, v46
	v_pk_fma_f32 v[44:45], v[48:49], v[76:77], v[44:45] op_sel_hi:[1,0,1]
	s_waitcnt lgkmcnt(0)
	v_xor_b32_e32 v63, 0x80000000, v1
	v_pk_fma_f32 v[60:61], v[46:47], v[76:77], v[44:45] op_sel:[1,1,0] op_sel_hi:[0,1,1]
	v_mov_b32_e32 v62, v0
	v_pk_fma_f32 v[60:61], v[62:63], v[78:79], v[60:61] op_sel_hi:[1,0,1]
	v_mov_b32_e32 v62, v79
	ds_read_b128 v[44:47], v52 offset:224
	ds_read_b128 v[48:51], v52 offset:240
	v_pk_fma_f32 v[0:1], v[0:1], v[62:63], v[60:61] op_sel:[1,0,0] op_sel_hi:[0,0,1]
	ds_read2_b64 v[60:63], v59 offset0:160 offset1:192
	v_xor_b32_e32 v65, 0x80000000, v3
	v_mov_b32_e32 v64, v2
	s_waitcnt lgkmcnt(2)
	v_pk_fma_f32 v[0:1], v[64:65], v[44:45], v[0:1] op_sel_hi:[1,0,1]
	s_nop 0
	v_pk_fma_f32 v[0:1], v[2:3], v[44:45], v[0:1] op_sel:[1,1,0] op_sel_hi:[0,1,1]
	s_waitcnt lgkmcnt(0)
	v_xor_b32_e32 v3, 0x80000000, v61
	v_mov_b32_e32 v2, v60
	v_pk_fma_f32 v[0:1], v[2:3], v[46:47], v[0:1] op_sel_hi:[1,0,1]
	v_mov_b32_e32 v2, v47
	v_pk_fma_f32 v[0:1], v[60:61], v[2:3], v[0:1] op_sel:[1,0,0] op_sel_hi:[0,0,1]
	ds_read_b64 v[2:3], v16 offset:7936
	v_xor_b32_e32 v45, 0x80000000, v63
	v_mov_b32_e32 v44, v62
	v_pk_fma_f32 v[0:1], v[44:45], v[48:49], v[0:1] op_sel_hi:[1,0,1]
	s_waitcnt lgkmcnt(0)
	v_xor_b32_e32 v45, 0x80000000, v3
	v_pk_fma_f32 v[0:1], v[62:63], v[48:49], v[0:1] op_sel:[1,1,0] op_sel_hi:[0,1,1]
	v_mov_b32_e32 v44, v2
	v_pk_fma_f32 v[0:1], v[44:45], v[50:51], v[0:1] op_sel_hi:[1,0,1]
	v_mov_b32_e32 v44, v51
	v_pk_fma_f32 v[50:51], v[2:3], v[44:45], v[0:1] op_sel:[1,0,0] op_sel_hi:[0,0,1]
.LBB7_36:                               ;   in Loop: Header=BB7_14 Depth=3
	s_mov_b64 s[62:63], 0
.LBB7_37:                               ;   in Loop: Header=BB7_14 Depth=3
	s_andn2_b64 vcc, exec, s[62:63]
	s_cbranch_vccnz .LBB7_39
; %bb.38:                               ;   in Loop: Header=BB7_14 Depth=3
	ds_read2_b64 v[0:3], v16 offset1:32
	ds_read_b128 v[44:47], v52
	ds_read_b128 v[48:51], v52 offset:16
	ds_read_b128 v[60:63], v52 offset:32
	;; [unrolled: 1-line block ×3, first 2 shown]
	ds_read2_b64 v[68:71], v16 offset0:64 offset1:96
	s_waitcnt lgkmcnt(4)
	v_pk_fma_f32 v[72:73], v[0:1], v[44:45], v[42:43] op_sel_hi:[1,0,1]
	s_nop 0
	v_pk_fma_f32 v[0:1], v[0:1], v[44:45], v[72:73] op_sel:[1,1,0] op_sel_hi:[0,1,1] neg_hi:[0,1,0]
	v_pk_fma_f32 v[0:1], v[2:3], v[46:47], v[0:1] op_sel_hi:[1,0,1]
	v_mov_b32_e32 v44, v47
	v_pk_fma_f32 v[0:1], v[2:3], v[44:45], v[0:1] op_sel:[1,0,0] op_sel_hi:[0,0,1] neg_hi:[0,1,0]
	s_waitcnt lgkmcnt(0)
	v_pk_fma_f32 v[44:45], v[68:69], v[48:49], v[0:1] op_sel_hi:[1,0,1]
	ds_read2_b64 v[0:3], v16 offset0:128 offset1:160
	v_pk_fma_f32 v[44:45], v[68:69], v[48:49], v[44:45] op_sel:[1,1,0] op_sel_hi:[0,1,1] neg_hi:[0,1,0]
	v_pk_fma_f32 v[44:45], v[70:71], v[50:51], v[44:45] op_sel_hi:[1,0,1]
	v_mov_b32_e32 v46, v51
	v_pk_fma_f32 v[44:45], v[70:71], v[46:47], v[44:45] op_sel:[1,0,0] op_sel_hi:[0,0,1] neg_hi:[0,1,0]
	s_waitcnt lgkmcnt(0)
	v_pk_fma_f32 v[44:45], v[0:1], v[60:61], v[44:45] op_sel_hi:[1,0,1]
	s_nop 0
	v_pk_fma_f32 v[0:1], v[0:1], v[60:61], v[44:45] op_sel:[1,1,0] op_sel_hi:[0,1,1] neg_hi:[0,1,0]
	ds_read_b128 v[44:47], v52 offset:64
	ds_read_b128 v[48:51], v52 offset:80
	;; [unrolled: 1-line block ×4, first 2 shown]
	ds_read2_b64 v[76:79], v16 offset0:192 offset1:224
	ds_read2_b64 v[80:83], v55 offset0:64 offset1:96
	v_pk_fma_f32 v[0:1], v[2:3], v[62:63], v[0:1] op_sel_hi:[1,0,1]
	v_mov_b32_e32 v60, v63
	v_pk_fma_f32 v[0:1], v[2:3], v[60:61], v[0:1] op_sel:[0,0,1] op_sel_hi:[1,0,0] neg_lo:[0,1,0]
	v_mov_b32_e32 v62, v67
	s_waitcnt lgkmcnt(1)
	v_pk_fma_f32 v[60:61], v[76:77], v[64:65], v[0:1] op_sel:[1,0,0] op_sel_hi:[0,0,1]
	ds_read2_b64 v[0:3], v55 offset1:32
	v_pk_fma_f32 v[60:61], v[76:77], v[64:65], v[60:61] op_sel:[0,1,0] neg_lo:[0,1,0]
	s_nop 0
	v_pk_fma_f32 v[60:61], v[78:79], v[66:67], v[60:61] op_sel:[1,0,0] op_sel_hi:[0,0,1]
	v_pk_fma_f32 v[60:61], v[78:79], v[62:63], v[60:61] op_sel_hi:[1,0,1] neg_lo:[0,1,0]
	s_waitcnt lgkmcnt(0)
	v_pk_fma_f32 v[60:61], v[0:1], v[44:45], v[60:61] op_sel:[1,0,0] op_sel_hi:[0,0,1]
	v_pk_fma_f32 v[0:1], v[0:1], v[44:45], v[60:61] op_sel:[0,1,0] neg_lo:[0,1,0]
	v_mov_b32_e32 v44, v47
	v_pk_fma_f32 v[0:1], v[2:3], v[46:47], v[0:1] op_sel:[1,0,0] op_sel_hi:[0,0,1]
	v_pk_fma_f32 v[0:1], v[2:3], v[44:45], v[0:1] op_sel_hi:[1,0,1] neg_lo:[0,1,0]
	v_mov_b32_e32 v46, v51
	v_pk_fma_f32 v[44:45], v[80:81], v[48:49], v[0:1] op_sel:[1,0,0] op_sel_hi:[0,0,1]
	ds_read2_b64 v[0:3], v55 offset0:128 offset1:160
	v_pk_fma_f32 v[44:45], v[80:81], v[48:49], v[44:45] op_sel:[0,1,0] neg_lo:[0,1,0]
	s_nop 0
	v_pk_fma_f32 v[44:45], v[82:83], v[50:51], v[44:45] op_sel:[0,0,1] op_sel_hi:[1,0,0]
	s_nop 0
	v_pk_fma_f32 v[44:45], v[82:83], v[46:47], v[44:45] op_sel:[1,0,0] op_sel_hi:[0,0,1] neg_hi:[0,1,0]
	s_waitcnt lgkmcnt(0)
	v_pk_fma_f32 v[48:49], v[0:1], v[68:69], v[44:45] op_sel_hi:[1,0,1]
	ds_read2_b64 v[44:47], v55 offset0:192 offset1:224
	v_pk_fma_f32 v[0:1], v[0:1], v[68:69], v[48:49] op_sel:[1,1,0] op_sel_hi:[0,1,1] neg_hi:[0,1,0]
	v_pk_fma_f32 v[0:1], v[2:3], v[70:71], v[0:1] op_sel_hi:[1,0,1]
	v_mov_b32_e32 v48, v71
	v_pk_fma_f32 v[0:1], v[2:3], v[48:49], v[0:1] op_sel:[1,0,0] op_sel_hi:[0,0,1] neg_hi:[0,1,0]
	s_waitcnt lgkmcnt(0)
	v_pk_fma_f32 v[0:1], v[44:45], v[72:73], v[0:1] op_sel_hi:[1,0,1]
	v_mov_b32_e32 v2, v75
	v_pk_fma_f32 v[0:1], v[44:45], v[72:73], v[0:1] op_sel:[1,1,0] op_sel_hi:[0,1,1] neg_hi:[0,1,0]
	v_pk_fma_f32 v[0:1], v[46:47], v[74:75], v[0:1] op_sel_hi:[1,0,1]
	s_nop 0
	v_pk_fma_f32 v[80:81], v[46:47], v[2:3], v[0:1] op_sel:[1,0,0] op_sel_hi:[0,0,1] neg_hi:[0,1,0]
	ds_read_b128 v[0:3], v52 offset:128
	ds_read_b128 v[44:47], v52 offset:144
	ds_read2_b64 v[48:51], v57 offset1:32
	ds_read_b128 v[60:63], v52 offset:160
	ds_read_b128 v[64:67], v52 offset:176
	;; [unrolled: 1-line block ×4, first 2 shown]
	ds_read2_b64 v[76:79], v57 offset0:128 offset1:160
	s_waitcnt lgkmcnt(5)
	v_pk_fma_f32 v[84:85], v[48:49], v[0:1], v[80:81] op_sel_hi:[1,0,1]
	ds_read2_b64 v[80:83], v57 offset0:64 offset1:96
	v_pk_fma_f32 v[0:1], v[48:49], v[0:1], v[84:85] op_sel:[0,1,1] op_sel_hi:[1,1,0] neg_lo:[0,1,0]
	s_nop 0
	v_pk_fma_f32 v[0:1], v[50:51], v[2:3], v[0:1] op_sel:[1,0,0] op_sel_hi:[0,0,1]
	v_mov_b32_e32 v2, v3
	v_pk_fma_f32 v[0:1], v[50:51], v[2:3], v[0:1] op_sel_hi:[1,0,1] neg_lo:[0,1,0]
	v_mov_b32_e32 v2, v47
	s_waitcnt lgkmcnt(0)
	v_pk_fma_f32 v[0:1], v[80:81], v[44:45], v[0:1] op_sel:[1,0,0] op_sel_hi:[0,0,1]
	v_pk_fma_f32 v[0:1], v[80:81], v[44:45], v[0:1] op_sel:[0,1,0] neg_lo:[0,1,0]
	s_nop 0
	v_pk_fma_f32 v[0:1], v[82:83], v[46:47], v[0:1] op_sel:[1,0,0] op_sel_hi:[0,0,1]
	v_pk_fma_f32 v[0:1], v[82:83], v[2:3], v[0:1] op_sel_hi:[1,0,1] neg_lo:[0,1,0]
	v_mov_b32_e32 v46, v63
	v_pk_fma_f32 v[44:45], v[76:77], v[60:61], v[0:1] op_sel:[1,0,0] op_sel_hi:[0,0,1]
	ds_read2_b64 v[0:3], v57 offset0:192 offset1:224
	v_pk_fma_f32 v[44:45], v[76:77], v[60:61], v[44:45] op_sel:[0,1,0] neg_lo:[0,1,0]
	s_nop 0
	v_pk_fma_f32 v[44:45], v[78:79], v[62:63], v[44:45] op_sel:[1,0,0] op_sel_hi:[0,0,1]
	v_pk_fma_f32 v[44:45], v[78:79], v[46:47], v[44:45] op_sel_hi:[1,0,1] neg_lo:[0,1,0]
	s_waitcnt lgkmcnt(0)
	v_pk_fma_f32 v[48:49], v[0:1], v[64:65], v[44:45] op_sel:[0,0,1] op_sel_hi:[1,0,0]
	ds_read2_b64 v[44:47], v59 offset1:32
	v_pk_fma_f32 v[0:1], v[0:1], v[64:65], v[48:49] op_sel:[1,1,0] op_sel_hi:[0,1,1] neg_hi:[0,1,0]
	v_pk_fma_f32 v[0:1], v[2:3], v[66:67], v[0:1] op_sel_hi:[1,0,1]
	v_mov_b32_e32 v48, v67
	v_pk_fma_f32 v[0:1], v[2:3], v[48:49], v[0:1] op_sel:[1,0,0] op_sel_hi:[0,0,1] neg_hi:[0,1,0]
	s_waitcnt lgkmcnt(0)
	v_pk_fma_f32 v[48:49], v[44:45], v[68:69], v[0:1] op_sel_hi:[1,0,1]
	ds_read2_b64 v[0:3], v59 offset0:64 offset1:96
	v_pk_fma_f32 v[44:45], v[44:45], v[68:69], v[48:49] op_sel:[1,1,0] op_sel_hi:[0,1,1] neg_hi:[0,1,0]
	v_pk_fma_f32 v[44:45], v[46:47], v[70:71], v[44:45] op_sel_hi:[1,0,1]
	v_mov_b32_e32 v48, v71
	v_pk_fma_f32 v[44:45], v[46:47], v[48:49], v[44:45] op_sel:[1,0,0] op_sel_hi:[0,0,1] neg_hi:[0,1,0]
	s_waitcnt lgkmcnt(0)
	v_pk_fma_f32 v[44:45], v[0:1], v[72:73], v[44:45] op_sel_hi:[1,0,1]
	v_mov_b32_e32 v64, v75
	v_pk_fma_f32 v[0:1], v[0:1], v[72:73], v[44:45] op_sel:[1,1,0] op_sel_hi:[0,1,1] neg_hi:[0,1,0]
	ds_read2_b64 v[44:47], v59 offset0:128 offset1:160
	ds_read_b128 v[48:51], v52 offset:224
	ds_read_b128 v[60:63], v52 offset:240
	v_pk_fma_f32 v[0:1], v[2:3], v[74:75], v[0:1] op_sel_hi:[1,0,1]
	s_nop 0
	v_pk_fma_f32 v[0:1], v[2:3], v[64:65], v[0:1] op_sel:[1,0,0] op_sel_hi:[0,0,1] neg_hi:[0,1,0]
	s_waitcnt lgkmcnt(1)
	v_pk_fma_f32 v[64:65], v[44:45], v[48:49], v[0:1] op_sel_hi:[1,0,1]
	ds_read2_b64 v[0:3], v59 offset0:192 offset1:224
	v_pk_fma_f32 v[44:45], v[44:45], v[48:49], v[64:65] op_sel:[1,1,0] op_sel_hi:[0,1,1] neg_hi:[0,1,0]
	v_pk_fma_f32 v[44:45], v[46:47], v[50:51], v[44:45] op_sel_hi:[1,0,1]
	v_mov_b32_e32 v48, v51
	v_pk_fma_f32 v[44:45], v[46:47], v[48:49], v[44:45] op_sel:[1,0,0] op_sel_hi:[0,0,1] neg_hi:[0,1,0]
	s_waitcnt lgkmcnt(0)
	v_pk_fma_f32 v[44:45], v[0:1], v[60:61], v[44:45] op_sel_hi:[1,0,1]
	s_nop 0
	v_pk_fma_f32 v[0:1], v[0:1], v[60:61], v[44:45] op_sel:[1,1,0] op_sel_hi:[0,1,1] neg_hi:[0,1,0]
	v_pk_fma_f32 v[0:1], v[2:3], v[62:63], v[0:1] op_sel_hi:[1,0,1]
	v_mov_b32_e32 v44, v63
	v_pk_fma_f32 v[50:51], v[2:3], v[44:45], v[0:1] op_sel:[1,0,0] op_sel_hi:[0,0,1] neg_hi:[0,1,0]
.LBB7_39:                               ;   in Loop: Header=BB7_14 Depth=3
	s_mov_b64 s[62:63], 0
.LBB7_40:                               ;   in Loop: Header=BB7_14 Depth=3
	s_andn2_b64 vcc, exec, s[62:63]
	s_cbranch_vccnz .LBB7_12
; %bb.41:                               ;   in Loop: Header=BB7_14 Depth=3
	ds_read2_b64 v[0:3], v16 offset1:32
	ds_read_b128 v[44:47], v52
	ds_read_b128 v[48:51], v52 offset:16
	ds_read_b128 v[60:63], v52 offset:32
	ds_read_b128 v[64:67], v52 offset:48
	s_waitcnt lgkmcnt(4)
	v_pk_add_f32 v[68:69], v[0:1], 0 neg_lo:[1,1] neg_hi:[1,1]
	s_nop 0
	v_mov_b32_e32 v68, v0
	s_waitcnt lgkmcnt(3)
	v_pk_fma_f32 v[42:43], v[68:69], v[44:45], v[42:43] op_sel_hi:[1,0,1]
	v_xor_b32_e32 v68, 0x80000000, v3
	v_pk_fma_f32 v[0:1], v[0:1], v[44:45], v[42:43] op_sel:[0,1,1] op_sel_hi:[1,1,0] neg_lo:[0,1,0] neg_hi:[0,1,0]
	ds_read2_b64 v[42:45], v16 offset0:64 offset1:96
	v_mov_b32_e32 v69, v2
	v_pk_fma_f32 v[0:1], v[68:69], v[46:47], v[0:1] op_sel_hi:[1,0,1]
	v_mov_b32_e32 v46, v47
	v_pk_fma_f32 v[0:1], v[2:3], v[46:47], v[0:1] op_sel_hi:[1,0,1] neg_lo:[0,1,0] neg_hi:[0,1,0]
	s_waitcnt lgkmcnt(0)
	v_xor_b32_e32 v2, 0x80000000, v43
	v_mov_b32_e32 v3, v42
	v_pk_fma_f32 v[0:1], v[2:3], v[48:49], v[0:1] op_sel_hi:[1,0,1]
	v_xor_b32_e32 v46, 0x80000000, v45
	v_pk_fma_f32 v[42:43], v[42:43], v[48:49], v[0:1] op_sel:[0,1,0] neg_lo:[0,1,0] neg_hi:[0,1,0]
	ds_read2_b64 v[0:3], v16 offset0:128 offset1:160
	v_mov_b32_e32 v47, v44
	v_pk_fma_f32 v[42:43], v[46:47], v[50:51], v[42:43] op_sel_hi:[1,0,1]
	v_mov_b32_e32 v46, v51
	v_pk_fma_f32 v[42:43], v[44:45], v[46:47], v[42:43] op_sel_hi:[1,0,1] neg_lo:[0,1,0] neg_hi:[0,1,0]
	s_waitcnt lgkmcnt(0)
	v_xor_b32_e32 v44, 0x80000000, v1
	v_mov_b32_e32 v45, v0
	v_pk_fma_f32 v[42:43], v[44:45], v[60:61], v[42:43] op_sel_hi:[1,0,1]
	s_nop 0
	v_pk_fma_f32 v[0:1], v[0:1], v[60:61], v[42:43] op_sel:[0,1,0] neg_lo:[0,1,0] neg_hi:[0,1,0]
	ds_read2_b64 v[42:45], v55 offset0:64 offset1:96
	ds_read_b128 v[46:49], v52 offset:64
	ds_read_b128 v[68:71], v52 offset:80
	;; [unrolled: 1-line block ×4, first 2 shown]
	ds_read2_b64 v[80:83], v16 offset0:192 offset1:224
	v_xor_b32_e32 v60, 0x80000000, v3
	v_mov_b32_e32 v61, v2
	v_pk_fma_f32 v[0:1], v[60:61], v[62:63], v[0:1] op_sel_hi:[1,0,1]
	v_mov_b32_e32 v60, v63
	v_pk_fma_f32 v[0:1], v[2:3], v[60:61], v[0:1] op_sel_hi:[1,0,1] neg_lo:[0,1,0] neg_hi:[0,1,0]
	s_waitcnt lgkmcnt(0)
	v_xor_b32_e32 v2, 0x80000000, v81
	v_mov_b32_e32 v3, v80
	v_pk_fma_f32 v[0:1], v[2:3], v[64:65], v[0:1] op_sel_hi:[1,0,1]
	v_xor_b32_e32 v62, 0x80000000, v83
	v_pk_fma_f32 v[60:61], v[80:81], v[64:65], v[0:1] op_sel:[0,1,0] neg_lo:[0,1,0] neg_hi:[0,1,0]
	ds_read2_b64 v[0:3], v55 offset1:32
	v_mov_b32_e32 v63, v82
	v_pk_fma_f32 v[60:61], v[62:63], v[66:67], v[60:61] op_sel_hi:[1,0,1]
	v_mov_b32_e32 v62, v67
	v_pk_fma_f32 v[60:61], v[82:83], v[62:63], v[60:61] op_sel_hi:[1,0,1] neg_lo:[0,1,0] neg_hi:[0,1,0]
	s_waitcnt lgkmcnt(0)
	v_xor_b32_e32 v62, 0x80000000, v1
	v_mov_b32_e32 v63, v0
	v_pk_fma_f32 v[60:61], v[62:63], v[46:47], v[60:61] op_sel_hi:[1,0,1]
	v_xor_b32_e32 v50, 0x80000000, v43
	v_pk_fma_f32 v[0:1], v[0:1], v[46:47], v[60:61] op_sel:[0,1,0] neg_lo:[0,1,0] neg_hi:[0,1,0]
	v_xor_b32_e32 v46, 0x80000000, v3
	v_mov_b32_e32 v47, v2
	v_pk_fma_f32 v[0:1], v[46:47], v[48:49], v[0:1] op_sel_hi:[1,0,1]
	v_mov_b32_e32 v46, v49
	v_pk_fma_f32 v[0:1], v[2:3], v[46:47], v[0:1] op_sel_hi:[1,0,1] neg_lo:[0,1,0] neg_hi:[0,1,0]
	v_mov_b32_e32 v51, v42
	v_pk_fma_f32 v[0:1], v[50:51], v[68:69], v[0:1] op_sel_hi:[1,0,1]
	v_xor_b32_e32 v46, 0x80000000, v45
	v_pk_fma_f32 v[42:43], v[42:43], v[68:69], v[0:1] op_sel:[0,1,0] neg_lo:[0,1,0] neg_hi:[0,1,0]
	ds_read2_b64 v[0:3], v55 offset0:128 offset1:160
	v_mov_b32_e32 v47, v44
	v_pk_fma_f32 v[42:43], v[46:47], v[70:71], v[42:43] op_sel_hi:[1,0,1]
	v_mov_b32_e32 v46, v71
	v_pk_fma_f32 v[42:43], v[44:45], v[46:47], v[42:43] op_sel_hi:[1,0,1] neg_lo:[0,1,0] neg_hi:[0,1,0]
	s_waitcnt lgkmcnt(0)
	v_xor_b32_e32 v44, 0x80000000, v1
	v_mov_b32_e32 v45, v0
	v_pk_fma_f32 v[42:43], v[44:45], v[72:73], v[42:43] op_sel_hi:[1,0,1]
	v_xor_b32_e32 v46, 0x80000000, v3
	v_pk_fma_f32 v[0:1], v[0:1], v[72:73], v[42:43] op_sel:[0,1,0] neg_lo:[0,1,0] neg_hi:[0,1,0]
	ds_read2_b64 v[42:45], v55 offset0:192 offset1:224
	v_mov_b32_e32 v47, v2
	v_pk_fma_f32 v[0:1], v[46:47], v[74:75], v[0:1] op_sel_hi:[1,0,1]
	v_mov_b32_e32 v46, v75
	v_pk_fma_f32 v[0:1], v[2:3], v[46:47], v[0:1] op_sel_hi:[1,0,1] neg_lo:[0,1,0] neg_hi:[0,1,0]
	s_waitcnt lgkmcnt(0)
	v_xor_b32_e32 v2, 0x80000000, v43
	v_mov_b32_e32 v3, v42
	v_pk_fma_f32 v[0:1], v[2:3], v[76:77], v[0:1] op_sel_hi:[1,0,1]
	v_xor_b32_e32 v2, 0x80000000, v45
	v_pk_fma_f32 v[0:1], v[42:43], v[76:77], v[0:1] op_sel:[0,1,0] neg_lo:[0,1,0] neg_hi:[0,1,0]
	v_mov_b32_e32 v3, v44
	v_pk_fma_f32 v[0:1], v[2:3], v[78:79], v[0:1] op_sel_hi:[1,0,1]
	v_mov_b32_e32 v2, v79
	v_pk_fma_f32 v[50:51], v[44:45], v[2:3], v[0:1] op_sel_hi:[1,0,1] neg_lo:[0,1,0] neg_hi:[0,1,0]
	ds_read_b128 v[0:3], v52 offset:128
	ds_read_b128 v[42:45], v52 offset:144
	ds_read2_b64 v[46:49], v57 offset0:128 offset1:160
	ds_read2_b64 v[60:63], v57 offset1:32
	ds_read_b128 v[64:67], v52 offset:160
	ds_read_b128 v[68:71], v52 offset:176
	ds_read_b128 v[72:75], v52 offset:192
	ds_read_b128 v[76:79], v52 offset:208
	s_waitcnt lgkmcnt(4)
	v_xor_b32_e32 v80, 0x80000000, v61
	v_mov_b32_e32 v81, v60
	v_pk_fma_f32 v[50:51], v[80:81], v[0:1], v[50:51] op_sel_hi:[1,0,1]
	ds_read2_b64 v[80:83], v57 offset0:64 offset1:96
	v_pk_fma_f32 v[0:1], v[60:61], v[0:1], v[50:51] op_sel:[0,1,0] neg_lo:[0,1,0] neg_hi:[0,1,0]
	v_xor_b32_e32 v50, 0x80000000, v63
	v_mov_b32_e32 v51, v62
	v_pk_fma_f32 v[0:1], v[50:51], v[2:3], v[0:1] op_sel_hi:[1,0,1]
	v_mov_b32_e32 v2, v3
	v_pk_fma_f32 v[0:1], v[62:63], v[2:3], v[0:1] op_sel_hi:[1,0,1] neg_lo:[0,1,0] neg_hi:[0,1,0]
	s_waitcnt lgkmcnt(0)
	v_xor_b32_e32 v2, 0x80000000, v81
	v_mov_b32_e32 v3, v80
	v_pk_fma_f32 v[0:1], v[2:3], v[42:43], v[0:1] op_sel_hi:[1,0,1]
	v_xor_b32_e32 v2, 0x80000000, v83
	v_pk_fma_f32 v[0:1], v[80:81], v[42:43], v[0:1] op_sel:[0,1,0] neg_lo:[0,1,0] neg_hi:[0,1,0]
	v_mov_b32_e32 v3, v82
	v_pk_fma_f32 v[0:1], v[2:3], v[44:45], v[0:1] op_sel_hi:[1,0,1]
	v_mov_b32_e32 v2, v45
	v_pk_fma_f32 v[0:1], v[82:83], v[2:3], v[0:1] op_sel_hi:[1,0,1] neg_lo:[0,1,0] neg_hi:[0,1,0]
	v_xor_b32_e32 v2, 0x80000000, v47
	v_mov_b32_e32 v3, v46
	v_pk_fma_f32 v[0:1], v[2:3], v[64:65], v[0:1] op_sel_hi:[1,0,1]
	v_xor_b32_e32 v84, 0x80000000, v49
	v_pk_fma_f32 v[42:43], v[46:47], v[64:65], v[0:1] op_sel:[0,1,0] neg_lo:[0,1,0] neg_hi:[0,1,0]
	ds_read2_b64 v[0:3], v57 offset0:192 offset1:224
	v_mov_b32_e32 v85, v48
	v_pk_fma_f32 v[42:43], v[84:85], v[66:67], v[42:43] op_sel_hi:[1,0,1]
	v_mov_b32_e32 v44, v67
	v_pk_fma_f32 v[42:43], v[48:49], v[44:45], v[42:43] op_sel_hi:[1,0,1] neg_lo:[0,1,0] neg_hi:[0,1,0]
	s_waitcnt lgkmcnt(0)
	v_xor_b32_e32 v45, 0x80000000, v1
	v_mov_b32_e32 v44, v0
	v_pk_fma_f32 v[42:43], v[44:45], v[68:69], v[42:43] op_sel:[0,0,1] op_sel_hi:[1,0,0]
	v_xor_b32_e32 v47, 0x80000000, v3
	v_pk_fma_f32 v[0:1], v[0:1], v[68:69], v[42:43] op_sel:[1,1,0] op_sel_hi:[0,1,1] neg_lo:[0,1,0] neg_hi:[0,1,0]
	ds_read2_b64 v[42:45], v59 offset1:32
	v_mov_b32_e32 v46, v2
	v_pk_fma_f32 v[0:1], v[46:47], v[70:71], v[0:1] op_sel_hi:[1,0,1]
	v_mov_b32_e32 v46, v71
	v_pk_fma_f32 v[0:1], v[2:3], v[46:47], v[0:1] op_sel:[1,0,0] op_sel_hi:[0,0,1] neg_lo:[0,1,0] neg_hi:[0,1,0]
	s_waitcnt lgkmcnt(0)
	v_xor_b32_e32 v3, 0x80000000, v43
	v_mov_b32_e32 v2, v42
	v_pk_fma_f32 v[0:1], v[2:3], v[72:73], v[0:1] op_sel_hi:[1,0,1]
	v_xor_b32_e32 v47, 0x80000000, v45
	v_pk_fma_f32 v[42:43], v[42:43], v[72:73], v[0:1] op_sel:[1,1,0] op_sel_hi:[0,1,1] neg_lo:[0,1,0] neg_hi:[0,1,0]
	ds_read2_b64 v[0:3], v59 offset0:64 offset1:96
	v_mov_b32_e32 v46, v44
	v_pk_fma_f32 v[42:43], v[46:47], v[74:75], v[42:43] op_sel_hi:[1,0,1]
	v_mov_b32_e32 v46, v75
	v_pk_fma_f32 v[42:43], v[44:45], v[46:47], v[42:43] op_sel:[1,0,0] op_sel_hi:[0,0,1] neg_lo:[0,1,0] neg_hi:[0,1,0]
	s_waitcnt lgkmcnt(0)
	v_xor_b32_e32 v45, 0x80000000, v1
	v_mov_b32_e32 v44, v0
	v_pk_fma_f32 v[42:43], v[44:45], v[76:77], v[42:43] op_sel_hi:[1,0,1]
	v_xor_b32_e32 v51, 0x80000000, v3
	v_pk_fma_f32 v[0:1], v[0:1], v[76:77], v[42:43] op_sel:[1,1,0] op_sel_hi:[0,1,1] neg_lo:[0,1,0] neg_hi:[0,1,0]
	ds_read_b128 v[42:45], v52 offset:224
	ds_read_b128 v[46:49], v52 offset:240
	ds_read2_b64 v[60:63], v59 offset0:128 offset1:160
	v_mov_b32_e32 v50, v2
	v_pk_fma_f32 v[0:1], v[50:51], v[78:79], v[0:1] op_sel_hi:[1,0,1]
	v_mov_b32_e32 v50, v79
	v_pk_fma_f32 v[0:1], v[2:3], v[50:51], v[0:1] op_sel:[1,0,0] op_sel_hi:[0,0,1] neg_lo:[0,1,0] neg_hi:[0,1,0]
	s_waitcnt lgkmcnt(0)
	v_xor_b32_e32 v3, 0x80000000, v61
	v_mov_b32_e32 v2, v60
	v_pk_fma_f32 v[0:1], v[2:3], v[42:43], v[0:1] op_sel_hi:[1,0,1]
	v_xor_b32_e32 v51, 0x80000000, v63
	v_pk_fma_f32 v[42:43], v[60:61], v[42:43], v[0:1] op_sel:[1,1,0] op_sel_hi:[0,1,1] neg_lo:[0,1,0] neg_hi:[0,1,0]
	ds_read2_b64 v[0:3], v59 offset0:192 offset1:224
	v_mov_b32_e32 v50, v62
	v_pk_fma_f32 v[42:43], v[50:51], v[44:45], v[42:43] op_sel_hi:[1,0,1]
	v_mov_b32_e32 v44, v45
	v_pk_fma_f32 v[42:43], v[62:63], v[44:45], v[42:43] op_sel:[1,0,0] op_sel_hi:[0,0,1] neg_lo:[0,1,0] neg_hi:[0,1,0]
	s_waitcnt lgkmcnt(0)
	v_xor_b32_e32 v45, 0x80000000, v1
	v_mov_b32_e32 v44, v0
	v_pk_fma_f32 v[42:43], v[44:45], v[46:47], v[42:43] op_sel_hi:[1,0,1]
	s_nop 0
	v_pk_fma_f32 v[0:1], v[0:1], v[46:47], v[42:43] op_sel:[1,1,0] op_sel_hi:[0,1,1] neg_lo:[0,1,0] neg_hi:[0,1,0]
	v_xor_b32_e32 v43, 0x80000000, v3
	v_mov_b32_e32 v42, v2
	v_pk_fma_f32 v[0:1], v[42:43], v[48:49], v[0:1] op_sel_hi:[1,0,1]
	v_mov_b32_e32 v42, v49
	v_pk_fma_f32 v[50:51], v[2:3], v[42:43], v[0:1] op_sel:[1,0,0] op_sel_hi:[0,0,1] neg_lo:[0,1,0] neg_hi:[0,1,0]
	s_branch .LBB7_12
.LBB7_42:                               ;   in Loop: Header=BB7_14 Depth=3
	s_mov_b64 s[62:63], 0
                                        ; implicit-def: $vgpr0_vgpr1
	s_cbranch_execnz .LBB7_26
	s_branch .LBB7_27
.LBB7_43:                               ;   in Loop: Header=BB7_8 Depth=1
	v_mov_b32_e32 v11, v10
	v_mov_b64_e32 v[42:43], v[10:11]
.LBB7_44:                               ;   in Loop: Header=BB7_8 Depth=1
	v_lshl_add_u64 v[2:3], v[30:31], 0, s[30:31]
	s_mov_b64 s[6:7], -1
	s_and_b64 vcc, exec, s[24:25]
                                        ; implicit-def: $vgpr0_vgpr1
	s_cbranch_vccnz .LBB7_47
; %bb.45:                               ;   in Loop: Header=BB7_8 Depth=1
	s_andn2_b64 vcc, exec, s[6:7]
	s_cbranch_vccz .LBB7_48
.LBB7_46:                               ;   in Loop: Header=BB7_8 Depth=1
	v_cmp_gt_i64_e32 vcc, s[26:27], v[30:31]
	s_and_b64 s[54:55], s[42:43], vcc
	s_and_saveexec_b64 s[6:7], s[54:55]
	s_cbranch_execz .LBB7_7
	s_branch .LBB7_49
.LBB7_47:                               ;   in Loop: Header=BB7_8 Depth=1
	v_mad_u64_u32 v[0:1], s[6:7], v2, s10, v[12:13]
	v_mul_lo_u32 v11, v2, s11
	v_mul_lo_u32 v32, v3, s10
	v_add3_u32 v1, v32, v1, v11
	s_cbranch_execnz .LBB7_46
.LBB7_48:                               ;   in Loop: Header=BB7_8 Depth=1
	v_lshl_add_u64 v[0:1], v[2:3], 0, v[20:21]
	v_cmp_gt_i64_e32 vcc, s[26:27], v[30:31]
	s_and_b64 s[54:55], s[42:43], vcc
	s_and_saveexec_b64 s[6:7], s[54:55]
	s_cbranch_execz .LBB7_7
.LBB7_49:                               ;   in Loop: Header=BB7_8 Depth=1
	v_pk_mul_f32 v[2:3], v[42:43], v[22:23] op_sel:[1,0]
	v_lshl_add_u64 v[0:1], v[0:1], 3, s[8:9]
	v_pk_fma_f32 v[2:3], v[4:5], v[42:43], v[2:3] op_sel_hi:[1,0,1]
	s_and_saveexec_b64 s[54:55], s[44:45]
	s_xor_b64 s[54:55], exec, s[54:55]
	s_cbranch_execz .LBB7_51
; %bb.50:                               ;   in Loop: Header=BB7_8 Depth=1
	global_load_dwordx2 v[30:31], v[0:1], off
	s_waitcnt vmcnt(0)
	v_pk_fma_f32 v[2:3], v[6:7], v[30:31], v[2:3] op_sel_hi:[1,0,1]
	s_nop 0
	v_pk_fma_f32 v[2:3], v[24:25], v[30:31], v[2:3] op_sel:[0,1,0]
	global_store_dwordx2 v[0:1], v[2:3], off
                                        ; implicit-def: $vgpr0_vgpr1
                                        ; implicit-def: $vgpr2_vgpr3
.LBB7_51:                               ;   in Loop: Header=BB7_8 Depth=1
	s_andn2_saveexec_b64 s[54:55], s[54:55]
	s_cbranch_execz .LBB7_7
; %bb.52:                               ;   in Loop: Header=BB7_8 Depth=1
	global_store_dwordx2 v[0:1], v[2:3], off
	s_branch .LBB7_7
.LBB7_53:
	s_endpgm
.LBB7_54:
                                        ; implicit-def: $sgpr28_sgpr29
	s_branch .LBB7_4
	.section	.rodata,"a",@progbits
	.p2align	6, 0x0
	.amdhsa_kernel _ZN9rocsparseL30bellmm_general_blockdim_kernelILi32ELi32E21rocsparse_complex_numIfElS2_S2_S2_EEv20rocsparse_operation_S3_20rocsparse_direction_T2_S5_NS_24const_host_device_scalarIT1_EES5_S5_PKS5_PKT3_PKT4_l16rocsparse_order_S8_PT5_lSH_21rocsparse_index_base_b
		.amdhsa_group_segment_fixed_size 16384
		.amdhsa_private_segment_fixed_size 0
		.amdhsa_kernarg_size 132
		.amdhsa_user_sgpr_count 2
		.amdhsa_user_sgpr_dispatch_ptr 0
		.amdhsa_user_sgpr_queue_ptr 0
		.amdhsa_user_sgpr_kernarg_segment_ptr 1
		.amdhsa_user_sgpr_dispatch_id 0
		.amdhsa_user_sgpr_kernarg_preload_length 0
		.amdhsa_user_sgpr_kernarg_preload_offset 0
		.amdhsa_user_sgpr_private_segment_size 0
		.amdhsa_uses_dynamic_stack 0
		.amdhsa_enable_private_segment 0
		.amdhsa_system_sgpr_workgroup_id_x 1
		.amdhsa_system_sgpr_workgroup_id_y 1
		.amdhsa_system_sgpr_workgroup_id_z 0
		.amdhsa_system_sgpr_workgroup_info 0
		.amdhsa_system_vgpr_workitem_id 1
		.amdhsa_next_free_vgpr 88
		.amdhsa_next_free_sgpr 74
		.amdhsa_accum_offset 88
		.amdhsa_reserve_vcc 1
		.amdhsa_float_round_mode_32 0
		.amdhsa_float_round_mode_16_64 0
		.amdhsa_float_denorm_mode_32 3
		.amdhsa_float_denorm_mode_16_64 3
		.amdhsa_dx10_clamp 1
		.amdhsa_ieee_mode 1
		.amdhsa_fp16_overflow 0
		.amdhsa_tg_split 0
		.amdhsa_exception_fp_ieee_invalid_op 0
		.amdhsa_exception_fp_denorm_src 0
		.amdhsa_exception_fp_ieee_div_zero 0
		.amdhsa_exception_fp_ieee_overflow 0
		.amdhsa_exception_fp_ieee_underflow 0
		.amdhsa_exception_fp_ieee_inexact 0
		.amdhsa_exception_int_div_zero 0
	.end_amdhsa_kernel
	.section	.text._ZN9rocsparseL30bellmm_general_blockdim_kernelILi32ELi32E21rocsparse_complex_numIfElS2_S2_S2_EEv20rocsparse_operation_S3_20rocsparse_direction_T2_S5_NS_24const_host_device_scalarIT1_EES5_S5_PKS5_PKT3_PKT4_l16rocsparse_order_S8_PT5_lSH_21rocsparse_index_base_b,"axG",@progbits,_ZN9rocsparseL30bellmm_general_blockdim_kernelILi32ELi32E21rocsparse_complex_numIfElS2_S2_S2_EEv20rocsparse_operation_S3_20rocsparse_direction_T2_S5_NS_24const_host_device_scalarIT1_EES5_S5_PKS5_PKT3_PKT4_l16rocsparse_order_S8_PT5_lSH_21rocsparse_index_base_b,comdat
.Lfunc_end7:
	.size	_ZN9rocsparseL30bellmm_general_blockdim_kernelILi32ELi32E21rocsparse_complex_numIfElS2_S2_S2_EEv20rocsparse_operation_S3_20rocsparse_direction_T2_S5_NS_24const_host_device_scalarIT1_EES5_S5_PKS5_PKT3_PKT4_l16rocsparse_order_S8_PT5_lSH_21rocsparse_index_base_b, .Lfunc_end7-_ZN9rocsparseL30bellmm_general_blockdim_kernelILi32ELi32E21rocsparse_complex_numIfElS2_S2_S2_EEv20rocsparse_operation_S3_20rocsparse_direction_T2_S5_NS_24const_host_device_scalarIT1_EES5_S5_PKS5_PKT3_PKT4_l16rocsparse_order_S8_PT5_lSH_21rocsparse_index_base_b
                                        ; -- End function
	.set _ZN9rocsparseL30bellmm_general_blockdim_kernelILi32ELi32E21rocsparse_complex_numIfElS2_S2_S2_EEv20rocsparse_operation_S3_20rocsparse_direction_T2_S5_NS_24const_host_device_scalarIT1_EES5_S5_PKS5_PKT3_PKT4_l16rocsparse_order_S8_PT5_lSH_21rocsparse_index_base_b.num_vgpr, 88
	.set _ZN9rocsparseL30bellmm_general_blockdim_kernelILi32ELi32E21rocsparse_complex_numIfElS2_S2_S2_EEv20rocsparse_operation_S3_20rocsparse_direction_T2_S5_NS_24const_host_device_scalarIT1_EES5_S5_PKS5_PKT3_PKT4_l16rocsparse_order_S8_PT5_lSH_21rocsparse_index_base_b.num_agpr, 0
	.set _ZN9rocsparseL30bellmm_general_blockdim_kernelILi32ELi32E21rocsparse_complex_numIfElS2_S2_S2_EEv20rocsparse_operation_S3_20rocsparse_direction_T2_S5_NS_24const_host_device_scalarIT1_EES5_S5_PKS5_PKT3_PKT4_l16rocsparse_order_S8_PT5_lSH_21rocsparse_index_base_b.numbered_sgpr, 74
	.set _ZN9rocsparseL30bellmm_general_blockdim_kernelILi32ELi32E21rocsparse_complex_numIfElS2_S2_S2_EEv20rocsparse_operation_S3_20rocsparse_direction_T2_S5_NS_24const_host_device_scalarIT1_EES5_S5_PKS5_PKT3_PKT4_l16rocsparse_order_S8_PT5_lSH_21rocsparse_index_base_b.num_named_barrier, 0
	.set _ZN9rocsparseL30bellmm_general_blockdim_kernelILi32ELi32E21rocsparse_complex_numIfElS2_S2_S2_EEv20rocsparse_operation_S3_20rocsparse_direction_T2_S5_NS_24const_host_device_scalarIT1_EES5_S5_PKS5_PKT3_PKT4_l16rocsparse_order_S8_PT5_lSH_21rocsparse_index_base_b.private_seg_size, 0
	.set _ZN9rocsparseL30bellmm_general_blockdim_kernelILi32ELi32E21rocsparse_complex_numIfElS2_S2_S2_EEv20rocsparse_operation_S3_20rocsparse_direction_T2_S5_NS_24const_host_device_scalarIT1_EES5_S5_PKS5_PKT3_PKT4_l16rocsparse_order_S8_PT5_lSH_21rocsparse_index_base_b.uses_vcc, 1
	.set _ZN9rocsparseL30bellmm_general_blockdim_kernelILi32ELi32E21rocsparse_complex_numIfElS2_S2_S2_EEv20rocsparse_operation_S3_20rocsparse_direction_T2_S5_NS_24const_host_device_scalarIT1_EES5_S5_PKS5_PKT3_PKT4_l16rocsparse_order_S8_PT5_lSH_21rocsparse_index_base_b.uses_flat_scratch, 0
	.set _ZN9rocsparseL30bellmm_general_blockdim_kernelILi32ELi32E21rocsparse_complex_numIfElS2_S2_S2_EEv20rocsparse_operation_S3_20rocsparse_direction_T2_S5_NS_24const_host_device_scalarIT1_EES5_S5_PKS5_PKT3_PKT4_l16rocsparse_order_S8_PT5_lSH_21rocsparse_index_base_b.has_dyn_sized_stack, 0
	.set _ZN9rocsparseL30bellmm_general_blockdim_kernelILi32ELi32E21rocsparse_complex_numIfElS2_S2_S2_EEv20rocsparse_operation_S3_20rocsparse_direction_T2_S5_NS_24const_host_device_scalarIT1_EES5_S5_PKS5_PKT3_PKT4_l16rocsparse_order_S8_PT5_lSH_21rocsparse_index_base_b.has_recursion, 0
	.set _ZN9rocsparseL30bellmm_general_blockdim_kernelILi32ELi32E21rocsparse_complex_numIfElS2_S2_S2_EEv20rocsparse_operation_S3_20rocsparse_direction_T2_S5_NS_24const_host_device_scalarIT1_EES5_S5_PKS5_PKT3_PKT4_l16rocsparse_order_S8_PT5_lSH_21rocsparse_index_base_b.has_indirect_call, 0
	.section	.AMDGPU.csdata,"",@progbits
; Kernel info:
; codeLenInByte = 7204
; TotalNumSgprs: 80
; NumVgprs: 88
; NumAgprs: 0
; TotalNumVgprs: 88
; ScratchSize: 0
; MemoryBound: 0
; FloatMode: 240
; IeeeMode: 1
; LDSByteSize: 16384 bytes/workgroup (compile time only)
; SGPRBlocks: 9
; VGPRBlocks: 10
; NumSGPRsForWavesPerEU: 80
; NumVGPRsForWavesPerEU: 88
; AccumOffset: 88
; Occupancy: 5
; WaveLimiterHint : 1
; COMPUTE_PGM_RSRC2:SCRATCH_EN: 0
; COMPUTE_PGM_RSRC2:USER_SGPR: 2
; COMPUTE_PGM_RSRC2:TRAP_HANDLER: 0
; COMPUTE_PGM_RSRC2:TGID_X_EN: 1
; COMPUTE_PGM_RSRC2:TGID_Y_EN: 1
; COMPUTE_PGM_RSRC2:TGID_Z_EN: 0
; COMPUTE_PGM_RSRC2:TIDIG_COMP_CNT: 1
; COMPUTE_PGM_RSRC3_GFX90A:ACCUM_OFFSET: 21
; COMPUTE_PGM_RSRC3_GFX90A:TG_SPLIT: 0
	.section	.text._ZN9rocsparseL30bellmm_general_blockdim_kernelILi32ELi32E21rocsparse_complex_numIdEiS2_S2_S2_EEv20rocsparse_operation_S3_20rocsparse_direction_T2_S5_NS_24const_host_device_scalarIT1_EES5_S5_PKS5_PKT3_PKT4_l16rocsparse_order_S8_PT5_lSH_21rocsparse_index_base_b,"axG",@progbits,_ZN9rocsparseL30bellmm_general_blockdim_kernelILi32ELi32E21rocsparse_complex_numIdEiS2_S2_S2_EEv20rocsparse_operation_S3_20rocsparse_direction_T2_S5_NS_24const_host_device_scalarIT1_EES5_S5_PKS5_PKT3_PKT4_l16rocsparse_order_S8_PT5_lSH_21rocsparse_index_base_b,comdat
	.globl	_ZN9rocsparseL30bellmm_general_blockdim_kernelILi32ELi32E21rocsparse_complex_numIdEiS2_S2_S2_EEv20rocsparse_operation_S3_20rocsparse_direction_T2_S5_NS_24const_host_device_scalarIT1_EES5_S5_PKS5_PKT3_PKT4_l16rocsparse_order_S8_PT5_lSH_21rocsparse_index_base_b ; -- Begin function _ZN9rocsparseL30bellmm_general_blockdim_kernelILi32ELi32E21rocsparse_complex_numIdEiS2_S2_S2_EEv20rocsparse_operation_S3_20rocsparse_direction_T2_S5_NS_24const_host_device_scalarIT1_EES5_S5_PKS5_PKT3_PKT4_l16rocsparse_order_S8_PT5_lSH_21rocsparse_index_base_b
	.p2align	8
	.type	_ZN9rocsparseL30bellmm_general_blockdim_kernelILi32ELi32E21rocsparse_complex_numIdEiS2_S2_S2_EEv20rocsparse_operation_S3_20rocsparse_direction_T2_S5_NS_24const_host_device_scalarIT1_EES5_S5_PKS5_PKT3_PKT4_l16rocsparse_order_S8_PT5_lSH_21rocsparse_index_base_b,@function
_ZN9rocsparseL30bellmm_general_blockdim_kernelILi32ELi32E21rocsparse_complex_numIdEiS2_S2_S2_EEv20rocsparse_operation_S3_20rocsparse_direction_T2_S5_NS_24const_host_device_scalarIT1_EES5_S5_PKS5_PKT3_PKT4_l16rocsparse_order_S8_PT5_lSH_21rocsparse_index_base_b: ; @_ZN9rocsparseL30bellmm_general_blockdim_kernelILi32ELi32E21rocsparse_complex_numIdEiS2_S2_S2_EEv20rocsparse_operation_S3_20rocsparse_direction_T2_S5_NS_24const_host_device_scalarIT1_EES5_S5_PKS5_PKT3_PKT4_l16rocsparse_order_S8_PT5_lSH_21rocsparse_index_base_b
; %bb.0:
	s_load_dwordx2 s[4:5], s[0:1], 0x18
	s_load_dwordx4 s[20:23], s[0:1], 0x78
	s_add_u32 s8, s0, 24
	s_addc_u32 s9, s1, 0
	s_add_u32 s10, s0, 0x58
	s_load_dwordx2 s[6:7], s[0:1], 0x58
	s_addc_u32 s11, s1, 0
	s_waitcnt lgkmcnt(0)
	s_bitcmp1_b32 s22, 0
	s_cselect_b32 s5, s9, s5
	s_cselect_b32 s4, s8, s4
	v_mov_b32_e32 v2, s4
	v_mov_b32_e32 v3, s5
	flat_load_dwordx4 v[2:5], v[2:3]
	s_cselect_b32 s4, s11, s7
	s_cselect_b32 s5, s10, s6
	v_mov_b32_e32 v6, s5
	v_mov_b32_e32 v7, s4
	flat_load_dwordx4 v[6:9], v[6:7]
	s_waitcnt vmcnt(0) lgkmcnt(0)
	v_cmp_eq_f64_e32 vcc, 0, v[2:3]
	v_cmp_eq_f64_e64 s[4:5], 0, v[4:5]
	s_and_b64 s[8:9], vcc, s[4:5]
	s_mov_b64 s[4:5], -1
	s_and_saveexec_b64 s[6:7], s[8:9]
; %bb.1:
	v_cmp_neq_f64_e32 vcc, 1.0, v[6:7]
	v_cmp_neq_f64_e64 s[4:5], 0, v[8:9]
	s_or_b64 s[4:5], vcc, s[4:5]
	s_orn2_b64 s[4:5], s[4:5], exec
; %bb.2:
	s_or_b64 exec, exec, s[6:7]
	s_and_saveexec_b64 s[6:7], s[4:5]
	s_cbranch_execz .LBB8_57
; %bb.3:
	s_load_dwordx4 s[24:27], s[0:1], 0x0
	s_load_dwordx2 s[22:23], s[0:1], 0x28
	s_mov_b32 s33, 0
	s_waitcnt lgkmcnt(0)
	s_cmp_lt_i32 s2, s27
	s_cselect_b64 s[4:5], -1, 0
	s_cmp_ge_i32 s2, s27
	s_cbranch_scc1 .LBB8_5
; %bb.4:
	s_abs_i32 s6, s23
	v_cvt_f32_u32_e32 v1, s6
	s_sub_i32 s9, 0, s6
	s_abs_i32 s8, s22
	s_xor_b32 s7, s22, s23
	v_rcp_iflag_f32_e32 v1, v1
	s_ashr_i32 s7, s7, 31
	v_mul_f32_e32 v1, 0x4f7ffffe, v1
	v_cvt_u32_f32_e32 v1, v1
	s_nop 0
	v_readfirstlane_b32 s10, v1
	s_mul_i32 s9, s9, s10
	s_mul_hi_u32 s9, s10, s9
	s_add_i32 s10, s10, s9
	s_mul_hi_u32 s9, s8, s10
	s_mul_i32 s10, s9, s6
	s_sub_i32 s8, s8, s10
	s_add_i32 s11, s9, 1
	s_sub_i32 s10, s8, s6
	s_cmp_ge_u32 s8, s6
	s_cselect_b32 s9, s11, s9
	s_cselect_b32 s8, s10, s8
	s_add_i32 s10, s9, 1
	s_cmp_ge_u32 s8, s6
	s_cselect_b32 s6, s10, s9
	s_xor_b32 s6, s6, s7
	s_sub_i32 s33, s6, s7
.LBB8_5:
	s_cmp_lt_i32 s23, 1
	s_cbranch_scc1 .LBB8_57
; %bb.6:
	s_load_dwordx8 s[12:19], s[0:1], 0x30
	s_load_dword s8, s[0:1], 0x10
	s_load_dwordx4 s[28:31], s[0:1], 0x68
	s_load_dword s10, s[0:1], 0x50
	v_bfe_u32 v56, v0, 10, 10
	v_lshl_add_u32 v42, s3, 5, v56
	s_cmp_gt_i32 s33, 0
	v_ashrrev_i32_e32 v43, 31, v42
	s_waitcnt lgkmcnt(0)
	v_mad_u64_u32 v[10:11], s[0:1], s18, v42, 0
	s_cselect_b64 s[6:7], -1, 0
	s_cmpk_eq_i32 s25, 0x6f
	v_and_b32_e32 v57, 0x3ff, v0
	v_mul_lo_u32 v0, s18, v43
	v_mul_lo_u32 v1, s19, v42
	v_cmp_gt_i32_e64 s[0:1], s8, v42
	s_cselect_b64 s[8:9], -1, 0
	s_cmp_lg_u32 s10, 1
	v_add3_u32 v11, v11, v0, v1
	s_cselect_b64 s[10:11], -1, 0
	s_cmp_lg_u32 s26, 0
	v_lshl_add_u64 v[0:1], v[42:43], 4, s[16:17]
	v_lshl_add_u64 v[44:45], v[10:11], 4, s[16:17]
	s_cselect_b64 s[16:17], -1, 0
	s_cmpk_eq_i32 s25, 0x71
	s_cselect_b64 s[36:37], -1, 0
	s_cmpk_lg_i32 s25, 0x71
	s_cselect_b64 s[34:35], -1, 0
	s_cmpk_lg_i32 s24, 0x71
	s_cselect_b64 s[38:39], -1, 0
	s_or_b64 s[24:25], s[38:39], s[34:35]
	s_and_b64 s[34:35], s[38:39], s[36:37]
	s_mul_i32 s3, s23, s2
	s_xor_b64 s[34:35], s[34:35], -1
	s_or_b64 s[44:45], s[38:39], s[36:37]
	v_mul_lo_u32 v10, s30, v43
	v_mul_lo_u32 v11, s31, v42
	v_mad_u64_u32 v[46:47], s[38:39], s30, v42, 0
	s_cmp_lg_u32 s20, 1
	v_add3_u32 v47, v47, v10, v11
	v_add_u32_e32 v10, s3, v56
	v_lshlrev_b32_e32 v58, 4, v57
	s_cselect_b64 s[36:37], -1, 0
	s_and_b64 s[38:39], s[4:5], s[0:1]
	v_cmp_neq_f64_e32 vcc, 0, v[6:7]
	v_cmp_neq_f64_e64 s[4:5], 0, v[8:9]
	v_mul_lo_u32 v60, s23, v10
	v_cndmask_b32_e64 v10, 0, 1, s[6:7]
	v_or_b32_e32 v12, 0x4000, v58
	v_lshlrev_b32_e32 v13, 9, v56
	s_or_b64 s[40:41], vcc, s[4:5]
	s_xor_b64 s[4:5], s[8:9], s[10:11]
	s_mul_i32 s20, s23, s23
	v_cmp_ne_u32_e64 s[10:11], 1, v10
	v_cndmask_b32_e64 v10, 0, 1, s[44:45]
	s_mov_b32 s22, 0
	v_add_u32_e32 v59, 0x4000, v13
	s_xor_b64 s[42:43], s[4:5], -1
	s_mul_i32 s20, s20, s27
	s_lshl_b32 s26, s23, 5
	v_mov_b32_e32 v49, 0
	v_add_u32_e32 v61, v12, v13
	v_add_u32_e32 v62, v58, v13
	v_cmp_ne_u32_e64 s[4:5], 1, v10
	s_branch .LBB8_8
.LBB8_7:                                ;   in Loop: Header=BB8_8 Depth=1
	s_or_b64 exec, exec, s[6:7]
	s_add_i32 s22, s22, 32
	s_cmp_lt_i32 s22, s23
	v_add_u32_e32 v60, 32, v60
	s_cbranch_scc0 .LBB8_57
.LBB8_8:                                ; =>This Loop Header: Depth=1
                                        ;     Child Loop BB8_11 Depth 2
                                        ;       Child Loop BB8_14 Depth 3
	v_add_u32_e32 v63, s22, v57
	s_and_b64 vcc, exec, s[10:11]
	v_cmp_gt_i32_e64 s[6:7], s23, v63
	v_mov_b64_e32 v[50:51], 0
	s_cbranch_vccnz .LBB8_47
; %bb.9:                                ;   in Loop: Header=BB8_8 Depth=1
	s_mov_b32 s54, 0
	v_mov_b32_e32 v64, v60
	v_mov_b64_e32 v[52:53], 0
	s_branch .LBB8_11
.LBB8_10:                               ;   in Loop: Header=BB8_11 Depth=2
	s_add_i32 s54, s54, 1
	s_cmp_eq_u32 s54, s33
	v_add_u32_e32 v64, s20, v64
	s_cbranch_scc1 .LBB8_48
.LBB8_11:                               ;   Parent Loop BB8_8 Depth=1
                                        ; =>  This Loop Header: Depth=2
                                        ;       Child Loop BB8_14 Depth 3
	s_mul_i32 s8, s54, s27
	s_add_i32 s8, s8, s2
	s_ashr_i32 s9, s8, 31
	s_lshl_b64 s[44:45], s[8:9], 2
	s_add_u32 s44, s12, s44
	s_addc_u32 s45, s13, s45
	s_load_dword s9, s[44:45], 0x0
	s_mul_i32 s8, s8, s23
	v_add_u32_e32 v10, s8, v63
	v_mul_lo_u32 v65, v10, s23
	v_add_u32_e32 v67, v57, v64
	s_waitcnt lgkmcnt(0)
	s_sub_i32 s8, s9, s21
	s_cmp_gt_i32 s8, -1
	s_cselect_b64 s[44:45], -1, 0
	s_mul_i32 s8, s8, s23
	v_cndmask_b32_e64 v10, 0, 1, s[44:45]
	v_add_u32_e32 v66, s8, v57
	v_cmp_ne_u32_e64 s[8:9], 1, v10
	s_mov_b32 s55, 0
	s_mov_b32 s56, 0
	s_branch .LBB8_14
.LBB8_12:                               ;   in Loop: Header=BB8_14 Depth=3
	v_mov_b64_e32 v[52:53], v[54:55]
	v_mov_b64_e32 v[50:51], v[34:35]
.LBB8_13:                               ;   in Loop: Header=BB8_14 Depth=3
	s_add_i32 s56, s56, 32
	s_add_i32 s55, s55, s26
	s_cmp_ge_i32 s56, s23
	s_waitcnt lgkmcnt(0)
	s_barrier
	s_cbranch_scc1 .LBB8_10
.LBB8_14:                               ;   Parent Loop BB8_8 Depth=1
                                        ;     Parent Loop BB8_11 Depth=2
                                        ; =>    This Inner Loop Header: Depth=3
	v_add_u32_e32 v10, s56, v57
	v_cmp_gt_i32_e32 vcc, s23, v10
	s_and_b64 s[46:47], s[0:1], vcc
	s_and_b64 s[48:49], s[46:47], s[44:45]
	s_and_b64 vcc, exec, s[42:43]
	s_cbranch_vccz .LBB8_18
; %bb.15:                               ;   in Loop: Header=BB8_14 Depth=3
	s_mov_b64 s[50:51], 0
	s_mov_b64 s[46:47], 0
                                        ; implicit-def: $vgpr14_vgpr15
	s_and_saveexec_b64 s[52:53], s[48:49]
	s_xor_b64 s[52:53], exec, s[52:53]
; %bb.16:                               ;   in Loop: Header=BB8_14 Depth=3
	v_add_u32_e32 v13, s56, v66
	v_mad_u64_u32 v[10:11], s[58:59], s18, v13, 0
	v_mov_b32_e32 v12, v11
	v_mad_u64_u32 v[12:13], s[58:59], s19, v13, v[12:13]
	v_mov_b32_e32 v11, v12
	s_mov_b64 s[46:47], exec
	v_lshl_add_u64 v[14:15], v[10:11], 4, v[0:1]
; %bb.17:                               ;   in Loop: Header=BB8_14 Depth=3
	s_or_b64 exec, exec, s[52:53]
	s_and_b64 vcc, exec, s[50:51]
	s_cbranch_vccnz .LBB8_19
	s_branch .LBB8_22
.LBB8_18:                               ;   in Loop: Header=BB8_14 Depth=3
	s_mov_b64 s[46:47], 0
                                        ; implicit-def: $vgpr14_vgpr15
	s_cbranch_execz .LBB8_22
.LBB8_19:                               ;   in Loop: Header=BB8_14 Depth=3
                                        ; implicit-def: $vgpr14_vgpr15
	s_and_saveexec_b64 s[50:51], s[48:49]
; %bb.20:                               ;   in Loop: Header=BB8_14 Depth=3
	v_add_u32_e32 v48, s56, v66
	v_lshl_add_u64 v[14:15], v[48:49], 4, v[44:45]
	s_or_b64 s[46:47], s[46:47], exec
; %bb.21:                               ;   in Loop: Header=BB8_14 Depth=3
	s_or_b64 exec, exec, s[50:51]
.LBB8_22:                               ;   in Loop: Header=BB8_14 Depth=3
	v_mov_b64_e32 v[10:11], 0
	v_mov_b64_e32 v[12:13], 0
	s_and_saveexec_b64 s[48:49], s[46:47]
	s_cbranch_execz .LBB8_24
; %bb.23:                               ;   in Loop: Header=BB8_14 Depth=3
	global_load_dwordx4 v[10:13], v[14:15], off
.LBB8_24:                               ;   in Loop: Header=BB8_14 Depth=3
	s_or_b64 exec, exec, s[48:49]
	v_add_u32_e32 v15, s56, v56
	v_cmp_gt_i32_e32 vcc, s23, v15
	s_and_b64 s[46:47], s[6:7], vcc
	s_and_b64 s[48:49], s[46:47], s[44:45]
	s_and_b64 vcc, exec, s[16:17]
	s_waitcnt vmcnt(0)
	ds_write_b128 v61, v[10:13]
	s_cbranch_vccz .LBB8_43
; %bb.25:                               ;   in Loop: Header=BB8_14 Depth=3
	s_mov_b64 s[50:51], 0
	s_mov_b64 s[46:47], 0
                                        ; implicit-def: $vgpr14
	s_and_saveexec_b64 s[52:53], s[48:49]
	s_xor_b64 s[52:53], exec, s[52:53]
; %bb.26:                               ;   in Loop: Header=BB8_14 Depth=3
	s_mov_b64 s[46:47], exec
	v_add_u32_e32 v14, s55, v67
; %bb.27:                               ;   in Loop: Header=BB8_14 Depth=3
	s_or_b64 exec, exec, s[52:53]
	s_and_b64 vcc, exec, s[50:51]
	s_cbranch_vccnz .LBB8_44
.LBB8_28:                               ;   in Loop: Header=BB8_14 Depth=3
	v_mov_b64_e32 v[10:11], 0
	v_mov_b64_e32 v[12:13], 0
	s_and_saveexec_b64 s[48:49], s[46:47]
	s_cbranch_execz .LBB8_30
.LBB8_29:                               ;   in Loop: Header=BB8_14 Depth=3
	v_ashrrev_i32_e32 v15, 31, v14
	v_lshl_add_u64 v[10:11], v[14:15], 4, s[14:15]
	global_load_dwordx4 v[10:13], v[10:11], off
.LBB8_30:                               ;   in Loop: Header=BB8_14 Depth=3
	s_or_b64 exec, exec, s[48:49]
	s_and_b64 vcc, exec, s[8:9]
	s_waitcnt vmcnt(0)
	ds_write_b128 v62, v[10:13]
	s_waitcnt lgkmcnt(0)
	s_barrier
	s_cbranch_vccnz .LBB8_13
; %bb.31:                               ;   in Loop: Header=BB8_14 Depth=3
	s_mov_b64 s[46:47], -1
	s_and_b64 vcc, exec, s[24:25]
                                        ; implicit-def: $vgpr34_vgpr35
                                        ; implicit-def: $vgpr54_vgpr55
	s_cbranch_vccz .LBB8_41
; %bb.32:                               ;   in Loop: Header=BB8_14 Depth=3
	s_and_b64 vcc, exec, s[34:35]
                                        ; implicit-def: $vgpr34_vgpr35
                                        ; implicit-def: $vgpr54_vgpr55
	s_cbranch_vccz .LBB8_38
; %bb.33:                               ;   in Loop: Header=BB8_14 Depth=3
	ds_read_b128 v[10:13], v58
	ds_read_b128 v[14:17], v58 offset:512
	ds_read_b128 v[18:21], v58 offset:1024
	s_and_b64 vcc, exec, s[4:5]
                                        ; implicit-def: $vgpr34_vgpr35
                                        ; implicit-def: $vgpr54_vgpr55
	s_cbranch_vccnz .LBB8_35
; %bb.34:                               ;   in Loop: Header=BB8_14 Depth=3
	ds_read_b128 v[34:37], v59
	ds_read_b128 v[30:33], v59 offset:16
	ds_read_b128 v[26:29], v59 offset:32
	ds_read_b128 v[22:25], v59 offset:48
	ds_read_b128 v[38:41], v58 offset:15872
	s_waitcnt lgkmcnt(4)
	v_fma_f64 v[54:55], v[10:11], v[34:35], v[52:53]
	v_fma_f64 v[34:35], v[12:13], v[34:35], v[50:51]
	v_fma_f64 v[54:55], -v[12:13], v[36:37], v[54:55]
	v_fmac_f64_e32 v[34:35], v[10:11], v[36:37]
	s_waitcnt lgkmcnt(3)
	v_fmac_f64_e32 v[54:55], v[14:15], v[30:31]
	v_fmac_f64_e32 v[34:35], v[16:17], v[30:31]
	v_fma_f64 v[36:37], -v[16:17], v[32:33], v[54:55]
	v_fmac_f64_e32 v[34:35], v[14:15], v[32:33]
	ds_read_b128 v[30:33], v58 offset:1536
	s_waitcnt lgkmcnt(3)
	v_fmac_f64_e32 v[36:37], v[18:19], v[26:27]
	v_fmac_f64_e32 v[34:35], v[20:21], v[26:27]
	v_fma_f64 v[36:37], -v[20:21], v[28:29], v[36:37]
	v_fmac_f64_e32 v[34:35], v[18:19], v[28:29]
	ds_read_b128 v[26:29], v58 offset:2048
	ds_read_b128 v[68:71], v59 offset:64
	s_waitcnt lgkmcnt(2)
	v_fmac_f64_e32 v[36:37], v[30:31], v[22:23]
	v_fmac_f64_e32 v[34:35], v[32:33], v[22:23]
	v_fma_f64 v[36:37], -v[32:33], v[24:25], v[36:37]
	v_fmac_f64_e32 v[34:35], v[30:31], v[24:25]
	ds_read_b128 v[22:25], v58 offset:2560
	;; [unrolled: 7-line block ×28, first 2 shown]
	s_waitcnt lgkmcnt(1)
	v_fmac_f64_e32 v[36:37], v[26:27], v[68:69]
	v_fmac_f64_e32 v[34:35], v[28:29], v[68:69]
	v_fma_f64 v[30:31], -v[28:29], v[70:71], v[36:37]
	v_fmac_f64_e32 v[34:35], v[26:27], v[70:71]
	s_waitcnt lgkmcnt(0)
	v_fmac_f64_e32 v[30:31], v[38:39], v[22:23]
	v_fmac_f64_e32 v[34:35], v[40:41], v[22:23]
	v_fma_f64 v[54:55], -v[40:41], v[24:25], v[30:31]
	v_fmac_f64_e32 v[34:35], v[38:39], v[24:25]
	s_mov_b64 s[46:47], 0
.LBB8_35:                               ;   in Loop: Header=BB8_14 Depth=3
	s_andn2_b64 vcc, exec, s[46:47]
	s_cbranch_vccnz .LBB8_37
; %bb.36:                               ;   in Loop: Header=BB8_14 Depth=3
	ds_read_b128 v[34:37], v59
	ds_read_b128 v[30:33], v59 offset:16
	ds_read_b128 v[26:29], v59 offset:32
	;; [unrolled: 1-line block ×4, first 2 shown]
	s_waitcnt lgkmcnt(4)
	v_fma_f64 v[54:55], v[10:11], v[34:35], v[52:53]
	v_fmac_f64_e32 v[54:55], v[12:13], v[36:37]
	v_fma_f64 v[12:13], -v[12:13], v[34:35], v[50:51]
	v_fmac_f64_e32 v[12:13], v[10:11], v[36:37]
	s_waitcnt lgkmcnt(3)
	v_fmac_f64_e32 v[54:55], v[14:15], v[30:31]
	v_fmac_f64_e32 v[54:55], v[16:17], v[32:33]
	v_fma_f64 v[16:17], -v[16:17], v[30:31], v[12:13]
	ds_read_b128 v[10:13], v58 offset:1536
	v_fmac_f64_e32 v[16:17], v[14:15], v[32:33]
	s_waitcnt lgkmcnt(3)
	v_fmac_f64_e32 v[54:55], v[18:19], v[26:27]
	v_fma_f64 v[26:27], -v[20:21], v[26:27], v[16:17]
	v_fmac_f64_e32 v[54:55], v[20:21], v[28:29]
	v_fmac_f64_e32 v[26:27], v[18:19], v[28:29]
	ds_read_b128 v[14:17], v58 offset:2048
	ds_read_b128 v[18:21], v59 offset:64
	s_waitcnt lgkmcnt(2)
	v_fmac_f64_e32 v[54:55], v[10:11], v[22:23]
	v_fma_f64 v[26:27], -v[12:13], v[22:23], v[26:27]
	v_fmac_f64_e32 v[54:55], v[12:13], v[24:25]
	v_fmac_f64_e32 v[26:27], v[10:11], v[24:25]
	ds_read_b128 v[10:13], v58 offset:2560
	ds_read_b128 v[22:25], v59 offset:80
	;; [unrolled: 7-line block ×27, first 2 shown]
	s_waitcnt lgkmcnt(2)
	v_fmac_f64_e32 v[54:55], v[10:11], v[22:23]
	v_fma_f64 v[22:23], -v[12:13], v[22:23], v[26:27]
	v_fmac_f64_e32 v[54:55], v[12:13], v[24:25]
	v_fmac_f64_e32 v[22:23], v[10:11], v[24:25]
	ds_read_b128 v[10:13], v59 offset:496
	s_waitcnt lgkmcnt(1)
	v_fmac_f64_e32 v[54:55], v[14:15], v[18:19]
	v_fmac_f64_e32 v[54:55], v[16:17], v[20:21]
	v_fma_f64 v[16:17], -v[16:17], v[18:19], v[22:23]
	v_fmac_f64_e32 v[16:17], v[14:15], v[20:21]
	s_waitcnt lgkmcnt(0)
	v_fmac_f64_e32 v[54:55], v[38:39], v[10:11]
	v_fma_f64 v[34:35], -v[40:41], v[10:11], v[16:17]
	v_fmac_f64_e32 v[54:55], v[40:41], v[12:13]
	v_fmac_f64_e32 v[34:35], v[38:39], v[12:13]
.LBB8_37:                               ;   in Loop: Header=BB8_14 Depth=3
	s_mov_b64 s[46:47], 0
.LBB8_38:                               ;   in Loop: Header=BB8_14 Depth=3
	s_andn2_b64 vcc, exec, s[46:47]
	s_cbranch_vccnz .LBB8_40
; %bb.39:                               ;   in Loop: Header=BB8_14 Depth=3
	s_waitcnt lgkmcnt(2)
	ds_read_b128 v[10:13], v58
	s_waitcnt lgkmcnt(2)
	ds_read_b128 v[14:17], v59
	s_waitcnt lgkmcnt(2)
	ds_read_b128 v[18:21], v59 offset:16
	ds_read_b128 v[22:25], v59 offset:32
	;; [unrolled: 1-line block ×4, first 2 shown]
	s_waitcnt lgkmcnt(4)
	v_fma_f64 v[54:55], v[10:11], v[14:15], v[52:53]
	v_fmac_f64_e32 v[54:55], v[12:13], v[16:17]
	v_fma_f64 v[12:13], v[12:13], v[14:15], v[50:51]
	v_fma_f64 v[14:15], v[10:11], -v[16:17], v[12:13]
	ds_read_b128 v[10:13], v58 offset:1024
	s_waitcnt lgkmcnt(1)
	v_fmac_f64_e32 v[14:15], v[32:33], v[18:19]
	v_fmac_f64_e32 v[54:55], v[30:31], v[18:19]
	v_fma_f64 v[18:19], v[30:31], -v[20:21], v[14:15]
	ds_read_b128 v[14:17], v58 offset:1536
	v_fmac_f64_e32 v[54:55], v[32:33], v[20:21]
	s_waitcnt lgkmcnt(1)
	v_fmac_f64_e32 v[54:55], v[10:11], v[22:23]
	v_fmac_f64_e32 v[18:19], v[12:13], v[22:23]
	v_fmac_f64_e32 v[54:55], v[12:13], v[24:25]
	v_fma_f64 v[22:23], v[10:11], -v[24:25], v[18:19]
	ds_read_b128 v[10:13], v58 offset:2048
	ds_read_b128 v[18:21], v59 offset:64
	s_waitcnt lgkmcnt(2)
	v_fmac_f64_e32 v[54:55], v[14:15], v[26:27]
	v_fmac_f64_e32 v[22:23], v[16:17], v[26:27]
	v_fmac_f64_e32 v[54:55], v[16:17], v[28:29]
	v_fma_f64 v[26:27], v[14:15], -v[28:29], v[22:23]
	ds_read_b128 v[14:17], v58 offset:2560
	ds_read_b128 v[22:25], v59 offset:80
	;; [unrolled: 7-line block ×28, first 2 shown]
	s_waitcnt lgkmcnt(2)
	v_fmac_f64_e32 v[54:55], v[10:11], v[18:19]
	v_fmac_f64_e32 v[26:27], v[12:13], v[18:19]
	;; [unrolled: 1-line block ×3, first 2 shown]
	v_fma_f64 v[10:11], v[10:11], -v[20:21], v[26:27]
	s_waitcnt lgkmcnt(0)
	v_fmac_f64_e32 v[54:55], v[14:15], v[22:23]
	v_fmac_f64_e32 v[10:11], v[16:17], v[22:23]
	;; [unrolled: 1-line block ×3, first 2 shown]
	v_fma_f64 v[34:35], v[14:15], -v[24:25], v[10:11]
.LBB8_40:                               ;   in Loop: Header=BB8_14 Depth=3
	s_mov_b64 s[46:47], 0
.LBB8_41:                               ;   in Loop: Header=BB8_14 Depth=3
	s_andn2_b64 vcc, exec, s[46:47]
	s_cbranch_vccnz .LBB8_12
; %bb.42:                               ;   in Loop: Header=BB8_14 Depth=3
	s_waitcnt lgkmcnt(2)
	ds_read_b128 v[10:13], v58
	s_waitcnt lgkmcnt(2)
	ds_read_b128 v[14:17], v59
	s_waitcnt lgkmcnt(2)
	ds_read_b128 v[18:21], v59 offset:16
	ds_read_b128 v[22:25], v59 offset:32
	;; [unrolled: 1-line block ×4, first 2 shown]
	s_waitcnt lgkmcnt(4)
	v_fmac_f64_e32 v[52:53], v[10:11], v[14:15]
	v_fma_f64 v[34:35], v[12:13], -v[16:17], v[52:53]
	v_fma_f64 v[12:13], -v[12:13], v[14:15], v[50:51]
	v_fma_f64 v[14:15], v[10:11], -v[16:17], v[12:13]
	ds_read_b128 v[10:13], v58 offset:1024
	s_waitcnt lgkmcnt(1)
	v_fma_f64 v[14:15], -v[32:33], v[18:19], v[14:15]
	v_fmac_f64_e32 v[34:35], v[30:31], v[18:19]
	v_fma_f64 v[18:19], v[30:31], -v[20:21], v[14:15]
	ds_read_b128 v[14:17], v58 offset:1536
	v_fma_f64 v[34:35], v[32:33], -v[20:21], v[34:35]
	s_waitcnt lgkmcnt(1)
	v_fmac_f64_e32 v[34:35], v[10:11], v[22:23]
	v_fma_f64 v[20:21], v[12:13], -v[24:25], v[34:35]
	v_fma_f64 v[12:13], -v[12:13], v[22:23], v[18:19]
	s_waitcnt lgkmcnt(0)
	v_fmac_f64_e32 v[20:21], v[14:15], v[26:27]
	v_fma_f64 v[22:23], v[10:11], -v[24:25], v[12:13]
	v_fma_f64 v[30:31], v[16:17], -v[28:29], v[20:21]
	ds_read_b128 v[10:13], v58 offset:2048
	ds_read_b128 v[18:21], v59 offset:64
	v_fma_f64 v[16:17], -v[16:17], v[26:27], v[22:23]
	v_fma_f64 v[26:27], v[14:15], -v[28:29], v[16:17]
	ds_read_b128 v[14:17], v58 offset:2560
	ds_read_b128 v[22:25], v59 offset:80
	s_waitcnt lgkmcnt(2)
	v_fmac_f64_e32 v[30:31], v[10:11], v[18:19]
	v_fma_f64 v[28:29], v[12:13], -v[20:21], v[30:31]
	v_fma_f64 v[12:13], -v[12:13], v[18:19], v[26:27]
	v_fma_f64 v[26:27], v[10:11], -v[20:21], v[12:13]
	ds_read_b128 v[10:13], v58 offset:3072
	ds_read_b128 v[18:21], v59 offset:96
	s_waitcnt lgkmcnt(2)
	v_fmac_f64_e32 v[28:29], v[14:15], v[22:23]
	v_fma_f64 v[28:29], v[16:17], -v[24:25], v[28:29]
	;; [unrolled: 7-line block ×27, first 2 shown]
	v_fma_f64 v[12:13], -v[12:13], v[18:19], v[26:27]
	v_fma_f64 v[10:11], v[10:11], -v[20:21], v[12:13]
	s_waitcnt lgkmcnt(0)
	v_fmac_f64_e32 v[28:29], v[14:15], v[22:23]
	v_fma_f64 v[10:11], -v[16:17], v[22:23], v[10:11]
	v_fma_f64 v[54:55], v[16:17], -v[24:25], v[28:29]
	v_fma_f64 v[34:35], v[14:15], -v[24:25], v[10:11]
	s_branch .LBB8_12
.LBB8_43:                               ;   in Loop: Header=BB8_14 Depth=3
	s_mov_b64 s[46:47], 0
                                        ; implicit-def: $vgpr14
	s_cbranch_execz .LBB8_28
.LBB8_44:                               ;   in Loop: Header=BB8_14 Depth=3
                                        ; implicit-def: $vgpr14
	s_and_saveexec_b64 s[50:51], s[48:49]
; %bb.45:                               ;   in Loop: Header=BB8_14 Depth=3
	v_add_u32_e32 v14, v15, v65
	s_or_b64 s[46:47], s[46:47], exec
; %bb.46:                               ;   in Loop: Header=BB8_14 Depth=3
	s_or_b64 exec, exec, s[50:51]
	v_mov_b64_e32 v[10:11], 0
	v_mov_b64_e32 v[12:13], 0
	s_and_saveexec_b64 s[48:49], s[46:47]
	s_cbranch_execnz .LBB8_29
	s_branch .LBB8_30
.LBB8_47:                               ;   in Loop: Header=BB8_8 Depth=1
	v_mov_b64_e32 v[52:53], 0
.LBB8_48:                               ;   in Loop: Header=BB8_8 Depth=1
	v_add_u32_e32 v10, s3, v63
	v_ashrrev_i32_e32 v11, 31, v10
	s_mov_b64 s[6:7], -1
	s_and_b64 vcc, exec, s[36:37]
                                        ; implicit-def: $vgpr14_vgpr15
	s_cbranch_vccnz .LBB8_51
; %bb.49:                               ;   in Loop: Header=BB8_8 Depth=1
	s_andn2_b64 vcc, exec, s[6:7]
	s_cbranch_vccz .LBB8_52
.LBB8_50:                               ;   in Loop: Header=BB8_8 Depth=1
	v_cmp_gt_i32_e32 vcc, s23, v63
	s_and_b64 s[8:9], s[38:39], vcc
	s_and_saveexec_b64 s[6:7], s[8:9]
	s_cbranch_execz .LBB8_7
	s_branch .LBB8_53
.LBB8_51:                               ;   in Loop: Header=BB8_8 Depth=1
	v_mad_u64_u32 v[14:15], s[6:7], s30, v10, v[42:43]
	v_mul_lo_u32 v12, s30, v11
	v_mul_lo_u32 v13, s31, v10
	v_add3_u32 v15, v13, v15, v12
	s_cbranch_execnz .LBB8_50
.LBB8_52:                               ;   in Loop: Header=BB8_8 Depth=1
	v_lshl_add_u64 v[14:15], v[46:47], 0, v[10:11]
	v_cmp_gt_i32_e32 vcc, s23, v63
	s_and_b64 s[8:9], s[38:39], vcc
	s_and_saveexec_b64 s[6:7], s[8:9]
	s_cbranch_execz .LBB8_7
.LBB8_53:                               ;   in Loop: Header=BB8_8 Depth=1
	v_mul_f64 v[10:11], v[50:51], -v[4:5]
	v_mul_f64 v[12:13], v[2:3], v[50:51]
	v_lshl_add_u64 v[14:15], v[14:15], 4, s[28:29]
	v_fmac_f64_e32 v[10:11], v[2:3], v[52:53]
	v_fmac_f64_e32 v[12:13], v[4:5], v[52:53]
	s_and_saveexec_b64 s[8:9], s[40:41]
	s_xor_b64 s[8:9], exec, s[8:9]
	s_cbranch_execz .LBB8_55
; %bb.54:                               ;   in Loop: Header=BB8_8 Depth=1
	global_load_dwordx4 v[16:19], v[14:15], off
	s_waitcnt vmcnt(0)
	v_fmac_f64_e32 v[10:11], v[6:7], v[16:17]
	v_fmac_f64_e32 v[12:13], v[8:9], v[16:17]
	v_fma_f64 v[10:11], -v[8:9], v[18:19], v[10:11]
	v_fmac_f64_e32 v[12:13], v[6:7], v[18:19]
	global_store_dwordx4 v[14:15], v[10:13], off
                                        ; implicit-def: $vgpr10_vgpr11
                                        ; implicit-def: $vgpr14_vgpr15
.LBB8_55:                               ;   in Loop: Header=BB8_8 Depth=1
	s_andn2_saveexec_b64 s[8:9], s[8:9]
	s_cbranch_execz .LBB8_7
; %bb.56:                               ;   in Loop: Header=BB8_8 Depth=1
	global_store_dwordx4 v[14:15], v[10:13], off
	s_branch .LBB8_7
.LBB8_57:
	s_endpgm
	.section	.rodata,"a",@progbits
	.p2align	6, 0x0
	.amdhsa_kernel _ZN9rocsparseL30bellmm_general_blockdim_kernelILi32ELi32E21rocsparse_complex_numIdEiS2_S2_S2_EEv20rocsparse_operation_S3_20rocsparse_direction_T2_S5_NS_24const_host_device_scalarIT1_EES5_S5_PKS5_PKT3_PKT4_l16rocsparse_order_S8_PT5_lSH_21rocsparse_index_base_b
		.amdhsa_group_segment_fixed_size 32768
		.amdhsa_private_segment_fixed_size 0
		.amdhsa_kernarg_size 132
		.amdhsa_user_sgpr_count 2
		.amdhsa_user_sgpr_dispatch_ptr 0
		.amdhsa_user_sgpr_queue_ptr 0
		.amdhsa_user_sgpr_kernarg_segment_ptr 1
		.amdhsa_user_sgpr_dispatch_id 0
		.amdhsa_user_sgpr_kernarg_preload_length 0
		.amdhsa_user_sgpr_kernarg_preload_offset 0
		.amdhsa_user_sgpr_private_segment_size 0
		.amdhsa_uses_dynamic_stack 0
		.amdhsa_enable_private_segment 0
		.amdhsa_system_sgpr_workgroup_id_x 1
		.amdhsa_system_sgpr_workgroup_id_y 1
		.amdhsa_system_sgpr_workgroup_id_z 0
		.amdhsa_system_sgpr_workgroup_info 0
		.amdhsa_system_vgpr_workitem_id 1
		.amdhsa_next_free_vgpr 72
		.amdhsa_next_free_sgpr 60
		.amdhsa_accum_offset 72
		.amdhsa_reserve_vcc 1
		.amdhsa_float_round_mode_32 0
		.amdhsa_float_round_mode_16_64 0
		.amdhsa_float_denorm_mode_32 3
		.amdhsa_float_denorm_mode_16_64 3
		.amdhsa_dx10_clamp 1
		.amdhsa_ieee_mode 1
		.amdhsa_fp16_overflow 0
		.amdhsa_tg_split 0
		.amdhsa_exception_fp_ieee_invalid_op 0
		.amdhsa_exception_fp_denorm_src 0
		.amdhsa_exception_fp_ieee_div_zero 0
		.amdhsa_exception_fp_ieee_overflow 0
		.amdhsa_exception_fp_ieee_underflow 0
		.amdhsa_exception_fp_ieee_inexact 0
		.amdhsa_exception_int_div_zero 0
	.end_amdhsa_kernel
	.section	.text._ZN9rocsparseL30bellmm_general_blockdim_kernelILi32ELi32E21rocsparse_complex_numIdEiS2_S2_S2_EEv20rocsparse_operation_S3_20rocsparse_direction_T2_S5_NS_24const_host_device_scalarIT1_EES5_S5_PKS5_PKT3_PKT4_l16rocsparse_order_S8_PT5_lSH_21rocsparse_index_base_b,"axG",@progbits,_ZN9rocsparseL30bellmm_general_blockdim_kernelILi32ELi32E21rocsparse_complex_numIdEiS2_S2_S2_EEv20rocsparse_operation_S3_20rocsparse_direction_T2_S5_NS_24const_host_device_scalarIT1_EES5_S5_PKS5_PKT3_PKT4_l16rocsparse_order_S8_PT5_lSH_21rocsparse_index_base_b,comdat
.Lfunc_end8:
	.size	_ZN9rocsparseL30bellmm_general_blockdim_kernelILi32ELi32E21rocsparse_complex_numIdEiS2_S2_S2_EEv20rocsparse_operation_S3_20rocsparse_direction_T2_S5_NS_24const_host_device_scalarIT1_EES5_S5_PKS5_PKT3_PKT4_l16rocsparse_order_S8_PT5_lSH_21rocsparse_index_base_b, .Lfunc_end8-_ZN9rocsparseL30bellmm_general_blockdim_kernelILi32ELi32E21rocsparse_complex_numIdEiS2_S2_S2_EEv20rocsparse_operation_S3_20rocsparse_direction_T2_S5_NS_24const_host_device_scalarIT1_EES5_S5_PKS5_PKT3_PKT4_l16rocsparse_order_S8_PT5_lSH_21rocsparse_index_base_b
                                        ; -- End function
	.set _ZN9rocsparseL30bellmm_general_blockdim_kernelILi32ELi32E21rocsparse_complex_numIdEiS2_S2_S2_EEv20rocsparse_operation_S3_20rocsparse_direction_T2_S5_NS_24const_host_device_scalarIT1_EES5_S5_PKS5_PKT3_PKT4_l16rocsparse_order_S8_PT5_lSH_21rocsparse_index_base_b.num_vgpr, 72
	.set _ZN9rocsparseL30bellmm_general_blockdim_kernelILi32ELi32E21rocsparse_complex_numIdEiS2_S2_S2_EEv20rocsparse_operation_S3_20rocsparse_direction_T2_S5_NS_24const_host_device_scalarIT1_EES5_S5_PKS5_PKT3_PKT4_l16rocsparse_order_S8_PT5_lSH_21rocsparse_index_base_b.num_agpr, 0
	.set _ZN9rocsparseL30bellmm_general_blockdim_kernelILi32ELi32E21rocsparse_complex_numIdEiS2_S2_S2_EEv20rocsparse_operation_S3_20rocsparse_direction_T2_S5_NS_24const_host_device_scalarIT1_EES5_S5_PKS5_PKT3_PKT4_l16rocsparse_order_S8_PT5_lSH_21rocsparse_index_base_b.numbered_sgpr, 60
	.set _ZN9rocsparseL30bellmm_general_blockdim_kernelILi32ELi32E21rocsparse_complex_numIdEiS2_S2_S2_EEv20rocsparse_operation_S3_20rocsparse_direction_T2_S5_NS_24const_host_device_scalarIT1_EES5_S5_PKS5_PKT3_PKT4_l16rocsparse_order_S8_PT5_lSH_21rocsparse_index_base_b.num_named_barrier, 0
	.set _ZN9rocsparseL30bellmm_general_blockdim_kernelILi32ELi32E21rocsparse_complex_numIdEiS2_S2_S2_EEv20rocsparse_operation_S3_20rocsparse_direction_T2_S5_NS_24const_host_device_scalarIT1_EES5_S5_PKS5_PKT3_PKT4_l16rocsparse_order_S8_PT5_lSH_21rocsparse_index_base_b.private_seg_size, 0
	.set _ZN9rocsparseL30bellmm_general_blockdim_kernelILi32ELi32E21rocsparse_complex_numIdEiS2_S2_S2_EEv20rocsparse_operation_S3_20rocsparse_direction_T2_S5_NS_24const_host_device_scalarIT1_EES5_S5_PKS5_PKT3_PKT4_l16rocsparse_order_S8_PT5_lSH_21rocsparse_index_base_b.uses_vcc, 1
	.set _ZN9rocsparseL30bellmm_general_blockdim_kernelILi32ELi32E21rocsparse_complex_numIdEiS2_S2_S2_EEv20rocsparse_operation_S3_20rocsparse_direction_T2_S5_NS_24const_host_device_scalarIT1_EES5_S5_PKS5_PKT3_PKT4_l16rocsparse_order_S8_PT5_lSH_21rocsparse_index_base_b.uses_flat_scratch, 0
	.set _ZN9rocsparseL30bellmm_general_blockdim_kernelILi32ELi32E21rocsparse_complex_numIdEiS2_S2_S2_EEv20rocsparse_operation_S3_20rocsparse_direction_T2_S5_NS_24const_host_device_scalarIT1_EES5_S5_PKS5_PKT3_PKT4_l16rocsparse_order_S8_PT5_lSH_21rocsparse_index_base_b.has_dyn_sized_stack, 0
	.set _ZN9rocsparseL30bellmm_general_blockdim_kernelILi32ELi32E21rocsparse_complex_numIdEiS2_S2_S2_EEv20rocsparse_operation_S3_20rocsparse_direction_T2_S5_NS_24const_host_device_scalarIT1_EES5_S5_PKS5_PKT3_PKT4_l16rocsparse_order_S8_PT5_lSH_21rocsparse_index_base_b.has_recursion, 0
	.set _ZN9rocsparseL30bellmm_general_blockdim_kernelILi32ELi32E21rocsparse_complex_numIdEiS2_S2_S2_EEv20rocsparse_operation_S3_20rocsparse_direction_T2_S5_NS_24const_host_device_scalarIT1_EES5_S5_PKS5_PKT3_PKT4_l16rocsparse_order_S8_PT5_lSH_21rocsparse_index_base_b.has_indirect_call, 0
	.section	.AMDGPU.csdata,"",@progbits
; Kernel info:
; codeLenInByte = 6920
; TotalNumSgprs: 66
; NumVgprs: 72
; NumAgprs: 0
; TotalNumVgprs: 72
; ScratchSize: 0
; MemoryBound: 1
; FloatMode: 240
; IeeeMode: 1
; LDSByteSize: 32768 bytes/workgroup (compile time only)
; SGPRBlocks: 8
; VGPRBlocks: 8
; NumSGPRsForWavesPerEU: 66
; NumVGPRsForWavesPerEU: 72
; AccumOffset: 72
; Occupancy: 7
; WaveLimiterHint : 0
; COMPUTE_PGM_RSRC2:SCRATCH_EN: 0
; COMPUTE_PGM_RSRC2:USER_SGPR: 2
; COMPUTE_PGM_RSRC2:TRAP_HANDLER: 0
; COMPUTE_PGM_RSRC2:TGID_X_EN: 1
; COMPUTE_PGM_RSRC2:TGID_Y_EN: 1
; COMPUTE_PGM_RSRC2:TGID_Z_EN: 0
; COMPUTE_PGM_RSRC2:TIDIG_COMP_CNT: 1
; COMPUTE_PGM_RSRC3_GFX90A:ACCUM_OFFSET: 17
; COMPUTE_PGM_RSRC3_GFX90A:TG_SPLIT: 0
	.section	.text._ZN9rocsparseL30bellmm_general_blockdim_kernelILi32ELi32E21rocsparse_complex_numIdElS2_S2_S2_EEv20rocsparse_operation_S3_20rocsparse_direction_T2_S5_NS_24const_host_device_scalarIT1_EES5_S5_PKS5_PKT3_PKT4_l16rocsparse_order_S8_PT5_lSH_21rocsparse_index_base_b,"axG",@progbits,_ZN9rocsparseL30bellmm_general_blockdim_kernelILi32ELi32E21rocsparse_complex_numIdElS2_S2_S2_EEv20rocsparse_operation_S3_20rocsparse_direction_T2_S5_NS_24const_host_device_scalarIT1_EES5_S5_PKS5_PKT3_PKT4_l16rocsparse_order_S8_PT5_lSH_21rocsparse_index_base_b,comdat
	.globl	_ZN9rocsparseL30bellmm_general_blockdim_kernelILi32ELi32E21rocsparse_complex_numIdElS2_S2_S2_EEv20rocsparse_operation_S3_20rocsparse_direction_T2_S5_NS_24const_host_device_scalarIT1_EES5_S5_PKS5_PKT3_PKT4_l16rocsparse_order_S8_PT5_lSH_21rocsparse_index_base_b ; -- Begin function _ZN9rocsparseL30bellmm_general_blockdim_kernelILi32ELi32E21rocsparse_complex_numIdElS2_S2_S2_EEv20rocsparse_operation_S3_20rocsparse_direction_T2_S5_NS_24const_host_device_scalarIT1_EES5_S5_PKS5_PKT3_PKT4_l16rocsparse_order_S8_PT5_lSH_21rocsparse_index_base_b
	.p2align	8
	.type	_ZN9rocsparseL30bellmm_general_blockdim_kernelILi32ELi32E21rocsparse_complex_numIdElS2_S2_S2_EEv20rocsparse_operation_S3_20rocsparse_direction_T2_S5_NS_24const_host_device_scalarIT1_EES5_S5_PKS5_PKT3_PKT4_l16rocsparse_order_S8_PT5_lSH_21rocsparse_index_base_b,@function
_ZN9rocsparseL30bellmm_general_blockdim_kernelILi32ELi32E21rocsparse_complex_numIdElS2_S2_S2_EEv20rocsparse_operation_S3_20rocsparse_direction_T2_S5_NS_24const_host_device_scalarIT1_EES5_S5_PKS5_PKT3_PKT4_l16rocsparse_order_S8_PT5_lSH_21rocsparse_index_base_b: ; @_ZN9rocsparseL30bellmm_general_blockdim_kernelILi32ELi32E21rocsparse_complex_numIdElS2_S2_S2_EEv20rocsparse_operation_S3_20rocsparse_direction_T2_S5_NS_24const_host_device_scalarIT1_EES5_S5_PKS5_PKT3_PKT4_l16rocsparse_order_S8_PT5_lSH_21rocsparse_index_base_b
; %bb.0:
	s_load_dwordx2 s[4:5], s[0:1], 0x20
	s_load_dwordx4 s[28:31], s[0:1], 0x88
	s_mov_b32 s6, s3
	s_add_u32 s3, s0, 32
	s_addc_u32 s7, s1, 0
	s_add_u32 s10, s0, 0x68
	s_load_dwordx2 s[8:9], s[0:1], 0x68
	s_addc_u32 s11, s1, 0
	s_waitcnt lgkmcnt(0)
	s_bitcmp1_b32 s30, 0
	s_cselect_b32 s5, s7, s5
	s_cselect_b32 s3, s3, s4
	v_mov_b32_e32 v2, s3
	v_mov_b32_e32 v3, s5
	flat_load_dwordx4 v[2:5], v[2:3]
	s_cselect_b32 s3, s11, s9
	s_cselect_b32 s4, s10, s8
	v_mov_b32_e32 v6, s4
	v_mov_b32_e32 v7, s3
	flat_load_dwordx4 v[6:9], v[6:7]
	s_waitcnt vmcnt(0) lgkmcnt(0)
	v_cmp_eq_f64_e32 vcc, 0, v[2:3]
	v_cmp_eq_f64_e64 s[4:5], 0, v[4:5]
	s_and_b64 s[10:11], vcc, s[4:5]
	s_mov_b64 s[4:5], -1
	s_and_saveexec_b64 s[8:9], s[10:11]
; %bb.1:
	v_cmp_neq_f64_e32 vcc, 1.0, v[6:7]
	v_cmp_neq_f64_e64 s[4:5], 0, v[8:9]
	s_or_b64 s[4:5], vcc, s[4:5]
	s_orn2_b64 s[4:5], s[4:5], exec
; %bb.2:
	s_or_b64 exec, exec, s[8:9]
	s_and_saveexec_b64 s[8:9], s[4:5]
	s_cbranch_execz .LBB9_55
; %bb.3:
	s_load_dwordx4 s[16:19], s[0:1], 0x10
	s_load_dwordx4 s[20:23], s[0:1], 0x30
	s_mov_b32 s3, 0
	v_mov_b64_e32 v[10:11], s[2:3]
	s_mov_b64 s[30:31], 0
	s_waitcnt lgkmcnt(0)
	v_cmp_le_i64_e32 vcc, s[16:17], v[10:11]
	v_cmp_gt_i64_e64 s[4:5], s[16:17], v[10:11]
	s_cbranch_vccnz .LBB9_7
; %bb.4:
	s_or_b64 s[8:9], s[20:21], s[22:23]
	s_mov_b32 s8, s3
	s_cmp_lg_u64 s[8:9], 0
	s_cbranch_scc0 .LBB9_56
; %bb.5:
	s_ashr_i32 s8, s23, 31
	s_add_u32 s10, s22, s8
	s_mov_b32 s9, s8
	s_addc_u32 s11, s23, s8
	s_xor_b64 s[12:13], s[10:11], s[8:9]
	v_cvt_f32_u32_e32 v1, s12
	v_cvt_f32_u32_e32 v10, s13
	s_sub_u32 s3, 0, s12
	s_subb_u32 s7, 0, s13
	v_fmamk_f32 v1, v10, 0x4f800000, v1
	v_rcp_f32_e32 v1, v1
	s_nop 0
	v_mul_f32_e32 v1, 0x5f7ffffc, v1
	v_mul_f32_e32 v10, 0x2f800000, v1
	v_trunc_f32_e32 v10, v10
	v_fmamk_f32 v1, v10, 0xcf800000, v1
	v_cvt_u32_f32_e32 v10, v10
	v_cvt_u32_f32_e32 v1, v1
	v_readfirstlane_b32 s24, v10
	v_readfirstlane_b32 s14, v1
	s_mul_i32 s15, s3, s24
	s_mul_hi_u32 s26, s3, s14
	s_mul_i32 s25, s7, s14
	s_add_i32 s15, s26, s15
	s_add_i32 s15, s15, s25
	s_mul_i32 s27, s3, s14
	s_mul_i32 s26, s14, s15
	s_mul_hi_u32 s30, s14, s27
	s_mul_hi_u32 s25, s14, s15
	s_add_u32 s26, s30, s26
	s_addc_u32 s25, 0, s25
	s_mul_hi_u32 s31, s24, s27
	s_mul_i32 s27, s24, s27
	s_add_u32 s26, s26, s27
	s_mul_hi_u32 s30, s24, s15
	s_addc_u32 s25, s25, s31
	s_addc_u32 s26, s30, 0
	s_mul_i32 s15, s24, s15
	s_add_u32 s15, s25, s15
	s_addc_u32 s25, 0, s26
	s_add_u32 s26, s14, s15
	s_cselect_b64 s[14:15], -1, 0
	s_cmp_lg_u64 s[14:15], 0
	s_addc_u32 s24, s24, s25
	s_mul_i32 s14, s3, s24
	s_mul_hi_u32 s15, s3, s26
	s_add_i32 s14, s15, s14
	s_mul_i32 s7, s7, s26
	s_add_i32 s14, s14, s7
	s_mul_i32 s3, s3, s26
	s_mul_hi_u32 s15, s24, s3
	s_mul_i32 s25, s24, s3
	s_mul_i32 s30, s26, s14
	s_mul_hi_u32 s3, s26, s3
	s_mul_hi_u32 s27, s26, s14
	s_add_u32 s3, s3, s30
	s_addc_u32 s27, 0, s27
	s_add_u32 s3, s3, s25
	s_mul_hi_u32 s7, s24, s14
	s_addc_u32 s3, s27, s15
	s_addc_u32 s7, s7, 0
	s_mul_i32 s14, s24, s14
	s_add_u32 s3, s3, s14
	s_addc_u32 s7, 0, s7
	s_add_u32 s3, s26, s3
	s_cselect_b64 s[14:15], -1, 0
	s_cmp_lg_u64 s[14:15], 0
	s_addc_u32 s7, s24, s7
	s_ashr_i32 s14, s21, 31
	s_add_u32 s24, s20, s14
	s_mov_b32 s15, s14
	s_addc_u32 s25, s21, s14
	s_xor_b64 s[24:25], s[24:25], s[14:15]
	s_mul_i32 s26, s24, s7
	s_mul_hi_u32 s27, s24, s3
	s_mul_hi_u32 s21, s24, s7
	s_add_u32 s26, s27, s26
	s_addc_u32 s21, 0, s21
	s_mul_hi_u32 s30, s25, s3
	s_mul_i32 s3, s25, s3
	s_add_u32 s3, s26, s3
	s_mul_hi_u32 s27, s25, s7
	s_addc_u32 s3, s21, s30
	s_addc_u32 s21, s27, 0
	s_mul_i32 s7, s25, s7
	s_add_u32 s3, s3, s7
	s_addc_u32 s7, 0, s21
	s_mul_i32 s21, s12, s7
	s_mul_hi_u32 s26, s12, s3
	s_add_i32 s21, s26, s21
	s_mul_i32 s26, s13, s3
	s_add_i32 s21, s21, s26
	s_sub_i32 s30, s25, s21
	s_mul_i32 s26, s12, s3
	s_sub_u32 s24, s24, s26
	s_cselect_b64 s[26:27], -1, 0
	s_cmp_lg_u64 s[26:27], 0
	s_subb_u32 s33, s30, s13
	s_sub_u32 s34, s24, s12
	s_cselect_b64 s[30:31], -1, 0
	s_cmp_lg_u64 s[30:31], 0
	s_subb_u32 s30, s33, 0
	s_cmp_ge_u32 s30, s13
	s_cselect_b32 s31, -1, 0
	s_cmp_ge_u32 s34, s12
	s_cselect_b32 s33, -1, 0
	s_cmp_eq_u32 s30, s13
	s_cselect_b32 s30, s33, s31
	s_add_u32 s31, s3, 1
	s_addc_u32 s33, s7, 0
	s_add_u32 s34, s3, 2
	s_addc_u32 s35, s7, 0
	s_cmp_lg_u32 s30, 0
	s_cselect_b32 s30, s34, s31
	s_cselect_b32 s31, s35, s33
	s_cmp_lg_u64 s[26:27], 0
	s_subb_u32 s21, s25, s21
	s_cmp_ge_u32 s21, s13
	s_cselect_b32 s25, -1, 0
	s_cmp_ge_u32 s24, s12
	s_cselect_b32 s12, -1, 0
	s_cmp_eq_u32 s21, s13
	s_cselect_b32 s12, s12, s25
	s_cmp_lg_u32 s12, 0
	s_cselect_b32 s13, s31, s7
	s_cselect_b32 s12, s30, s3
	s_xor_b64 s[8:9], s[14:15], s[8:9]
	s_xor_b64 s[12:13], s[12:13], s[8:9]
	s_sub_u32 s30, s12, s8
	s_subb_u32 s31, s13, s9
	s_cbranch_execnz .LBB9_7
.LBB9_6:
	v_cvt_f32_u32_e32 v1, s22
	s_sub_i32 s3, 0, s22
	s_mov_b32 s31, 0
	v_rcp_iflag_f32_e32 v1, v1
	s_nop 0
	v_mul_f32_e32 v1, 0x4f7ffffe, v1
	v_cvt_u32_f32_e32 v1, v1
	s_nop 0
	v_readfirstlane_b32 s7, v1
	s_mul_i32 s3, s3, s7
	s_mul_hi_u32 s3, s7, s3
	s_add_i32 s7, s7, s3
	s_mul_hi_u32 s3, s20, s7
	s_mul_i32 s8, s3, s22
	s_sub_i32 s8, s20, s8
	s_add_i32 s7, s3, 1
	s_sub_i32 s9, s8, s22
	s_cmp_ge_u32 s8, s22
	s_cselect_b32 s3, s7, s3
	s_cselect_b32 s8, s9, s8
	s_add_i32 s7, s3, 1
	s_cmp_ge_u32 s8, s22
	s_cselect_b32 s30, s7, s3
.LBB9_7:
	v_cmp_lt_i64_e64 s[8:9], s[22:23], 1
	s_and_b64 vcc, exec, s[8:9]
	s_cbranch_vccnz .LBB9_55
; %bb.8:
	s_load_dwordx4 s[36:39], s[0:1], 0x0
	s_load_dwordx4 s[24:27], s[0:1], 0x78
	s_load_dwordx8 s[8:15], s[0:1], 0x40
	s_waitcnt lgkmcnt(0)
	s_load_dword s39, s[0:1], 0x60
                                        ; kill: killed $sgpr0 killed $sgpr1
	s_mul_i32 s0, s23, s2
	s_mul_hi_u32 s1, s22, s2
	s_add_i32 s21, s1, s0
	s_mul_i32 s0, s22, s23
	s_mul_hi_u32 s1, s22, s22
	s_add_i32 s1, s1, s0
	s_lshl_b32 s6, s6, 5
	s_add_i32 s3, s1, s0
	s_mov_b32 s7, 0
	v_bfe_u32 v22, v0, 10, 10
	v_mov_b32_e32 v23, 0
	s_cmpk_eq_i32 s37, 0x6f
	v_lshl_add_u64 v[24:25], s[6:7], 0, v[22:23]
	s_cselect_b64 s[6:7], -1, 0
	s_waitcnt lgkmcnt(0)
	s_cmp_lg_u32 s39, 1
	s_cselect_b64 s[46:47], -1, 0
	s_cmp_lg_u32 s38, 0
	v_cmp_gt_i64_e64 s[0:1], s[18:19], v[24:25]
	s_cselect_b64 s[18:19], -1, 0
	s_cmpk_eq_i32 s37, 0x71
	s_cselect_b64 s[40:41], -1, 0
	s_cmpk_lg_i32 s37, 0x71
	s_cselect_b64 s[38:39], -1, 0
	s_cmpk_lg_i32 s36, 0x71
	s_cselect_b64 s[42:43], -1, 0
	s_or_b64 s[36:37], s[42:43], s[38:39]
	s_and_b64 s[38:39], s[42:43], s[40:41]
	s_xor_b64 s[38:39], s[38:39], -1
	s_or_b64 s[40:41], s[42:43], s[40:41]
	s_cmp_lg_u32 s28, 1
	v_mad_u64_u32 v[30:31], s[42:43], s26, v24, 0
	s_mov_b32 s70, s29
	s_cselect_b64 s[28:29], -1, 0
	s_and_b64 s[42:43], s[4:5], s[0:1]
	v_cmp_neq_f64_e32 vcc, 0, v[6:7]
	v_cmp_neq_f64_e64 s[4:5], 0, v[8:9]
	v_mul_lo_u32 v10, s27, v24
	v_mul_lo_u32 v11, s26, v25
	s_or_b64 s[44:45], vcc, s[4:5]
	s_xor_b64 s[4:5], s[6:7], s[46:47]
	v_and_b32_e32 v0, 0x3ff, v0
	v_add3_u32 v31, v31, v11, v10
	s_xor_b64 s[46:47], s[4:5], -1
	v_mul_lo_u32 v12, s15, v24
	v_mul_lo_u32 v13, s14, v25
	v_mad_u64_u32 v[10:11], s[4:5], s14, v24, 0
	v_lshlrev_b32_e32 v26, 4, v0
	v_add3_u32 v11, v11, v13, v12
	v_mov_b32_e32 v27, v23
	s_mul_i32 s20, s22, s2
	v_lshl_add_u64 v[10:11], v[10:11], 4, v[26:27]
	v_lshl_add_u64 v[32:33], s[12:13], 0, v[10:11]
	;; [unrolled: 1-line block ×3, first 2 shown]
	v_lshlrev_b32_e32 v12, 4, v22
	v_mov_b32_e32 v13, v23
	s_mul_i32 s33, s22, s22
	v_mul_lo_u32 v16, s22, v11
	v_mul_lo_u32 v17, s23, v10
	v_mad_u64_u32 v[10:11], s[4:5], s22, v10, v[12:13]
	s_mul_i32 s4, s33, s17
	s_mul_hi_u32 s5, s33, s16
	s_add_i32 s4, s5, s4
	s_mul_i32 s5, s3, s16
	s_add_i32 s5, s4, s5
	s_mul_i32 s4, s33, s16
	v_add3_u32 v11, v17, v11, v16
	s_lshl_b64 s[50:51], s[4:5], 4
	v_cmp_gt_i64_e64 s[4:5], s[30:31], 0
	v_or_b32_e32 v14, 0x4000, v26
	v_lshlrev_b32_e32 v15, 9, v22
	v_lshl_add_u64 v[34:35], s[10:11], 0, v[10:11]
	v_cndmask_b32_e64 v10, 0, 1, s[4:5]
	v_mov_b32_e32 v1, v23
	s_mov_b64 s[34:35], 0
	v_lshl_add_u64 v[28:29], v[24:25], 4, s[12:13]
	v_add_u32_e32 v56, 0x4000, v15
	s_lshl_b64 s[12:13], s[22:23], 4
	s_lshl_b64 s[48:49], s[22:23], 9
	v_add_u32_e32 v27, v14, v15
	v_add_u32_e32 v57, v26, v15
	s_mov_b64 s[52:53], 0x200
	v_cmp_ne_u32_e64 s[4:5], 1, v10
	s_branch .LBB9_10
.LBB9_9:                                ;   in Loop: Header=BB9_10 Depth=1
	s_or_b64 exec, exec, s[6:7]
	s_add_u32 s34, s34, 32
	s_addc_u32 s35, s35, 0
	v_mov_b64_e32 v[10:11], s[22:23]
	v_cmp_lt_i64_e32 vcc, s[34:35], v[10:11]
	v_lshl_add_u64 v[34:35], v[34:35], 0, s[48:49]
	s_cbranch_vccz .LBB9_55
.LBB9_10:                               ; =>This Loop Header: Depth=1
                                        ;     Child Loop BB9_13 Depth 2
                                        ;       Child Loop BB9_16 Depth 3
	v_lshl_add_u64 v[36:37], s[34:35], 0, v[0:1]
	s_and_b64 vcc, exec, s[4:5]
	v_cmp_gt_i64_e64 s[6:7], s[22:23], v[36:37]
	s_cbranch_vccnz .LBB9_45
; %bb.11:                               ;   in Loop: Header=BB9_10 Depth=1
	v_lshl_add_u64 v[38:39], v[36:37], 4, s[10:11]
	v_mov_b64_e32 v[48:49], 0
	s_mov_b64 s[54:55], 0
	v_mov_b64_e32 v[40:41], v[34:35]
	v_mov_b64_e32 v[50:51], 0
	s_branch .LBB9_13
.LBB9_12:                               ;   in Loop: Header=BB9_13 Depth=2
	s_add_u32 s54, s54, 1
	s_addc_u32 s55, s55, 0
	s_cmp_eq_u64 s[54:55], s[30:31]
	v_lshl_add_u64 v[40:41], v[40:41], 0, s[50:51]
	s_cbranch_scc1 .LBB9_46
.LBB9_13:                               ;   Parent Loop BB9_10 Depth=1
                                        ; =>  This Loop Header: Depth=2
                                        ;       Child Loop BB9_16 Depth 3
	s_mul_i32 s56, s54, s17
	s_mul_hi_u32 s57, s54, s16
	s_add_i32 s56, s57, s56
	s_mul_i32 s57, s55, s16
	s_add_i32 s57, s56, s57
	s_mul_i32 s56, s54, s16
	s_add_u32 s56, s56, s2
	s_addc_u32 s57, s57, 0
	s_mul_i32 s58, s33, s57
	s_mul_hi_u32 s59, s33, s56
	s_add_i32 s58, s59, s58
	s_mul_i32 s59, s3, s56
	s_add_i32 s59, s58, s59
	s_lshl_b64 s[60:61], s[56:57], 3
	s_add_u32 s60, s8, s60
	s_addc_u32 s61, s9, s61
	s_load_dwordx2 s[60:61], s[60:61], 0x0
	s_mul_i32 s58, s33, s56
	v_lshl_add_u64 v[42:43], s[58:59], 4, v[38:39]
	v_mov_b64_e32 v[46:47], v[40:41]
	s_waitcnt lgkmcnt(0)
	s_sub_u32 s60, s60, s70
	s_subb_u32 s61, s61, 0
	s_mul_i32 s56, s60, s23
	s_mul_hi_u32 s57, s60, s22
	s_mul_i32 s58, s13, s60
	s_mul_i32 s59, s12, s61
	v_mov_b32_e32 v10, s60
	s_add_i32 s56, s57, s56
	s_mul_i32 s57, s61, s22
	s_add_i32 s62, s59, s58
	v_mad_u64_u32 v[44:45], s[58:59], s12, v10, v[32:33]
	s_add_i32 s57, s56, s57
	s_mul_i32 s56, s60, s22
	v_add_u32_e32 v45, s62, v45
	v_cmp_gt_i64_e64 s[58:59], s[60:61], -1
	s_mov_b64 s[60:61], 0
	s_branch .LBB9_16
.LBB9_14:                               ;   in Loop: Header=BB9_16 Depth=3
	v_mov_b64_e32 v[50:51], v[52:53]
	v_mov_b64_e32 v[48:49], v[54:55]
.LBB9_15:                               ;   in Loop: Header=BB9_16 Depth=3
	s_add_u32 s60, s60, 32
	s_addc_u32 s61, s61, 0
	s_waitcnt lgkmcnt(0)
	v_mov_b64_e32 v[10:11], s[22:23]
	v_cmp_ge_i64_e32 vcc, s[60:61], v[10:11]
	v_lshl_add_u64 v[44:45], v[44:45], 0, s[52:53]
	v_lshl_add_u64 v[46:47], v[46:47], 0, s[52:53]
	s_barrier
	s_cbranch_vccnz .LBB9_12
.LBB9_16:                               ;   Parent Loop BB9_10 Depth=1
                                        ;     Parent Loop BB9_13 Depth=2
                                        ; =>    This Inner Loop Header: Depth=3
	v_lshl_add_u64 v[10:11], s[60:61], 0, v[0:1]
	v_cmp_gt_i64_e32 vcc, s[22:23], v[10:11]
	s_and_b64 s[62:63], s[0:1], vcc
	s_and_b64 s[64:65], s[62:63], s[58:59]
	s_and_b64 vcc, exec, s[46:47]
	s_cbranch_vccz .LBB9_20
; %bb.17:                               ;   in Loop: Header=BB9_16 Depth=3
	s_mov_b64 s[66:67], 0
	s_mov_b64 s[62:63], 0
                                        ; implicit-def: $vgpr14_vgpr15
	s_and_saveexec_b64 s[68:69], s[64:65]
	s_xor_b64 s[68:69], exec, s[68:69]
; %bb.18:                               ;   in Loop: Header=BB9_16 Depth=3
	v_lshl_add_u64 v[10:11], v[10:11], 0, s[56:57]
	v_mul_lo_u32 v12, v11, s14
	v_mul_lo_u32 v13, v10, s15
	v_mad_u64_u32 v[10:11], s[72:73], v10, s14, 0
	v_add3_u32 v11, v11, v13, v12
	s_mov_b64 s[62:63], exec
	v_lshl_add_u64 v[14:15], v[10:11], 4, v[28:29]
; %bb.19:                               ;   in Loop: Header=BB9_16 Depth=3
	s_or_b64 exec, exec, s[68:69]
	s_and_b64 vcc, exec, s[66:67]
	s_cbranch_vccnz .LBB9_21
	s_branch .LBB9_22
.LBB9_20:                               ;   in Loop: Header=BB9_16 Depth=3
	s_mov_b64 s[62:63], 0
                                        ; implicit-def: $vgpr14_vgpr15
	s_cbranch_execz .LBB9_22
.LBB9_21:                               ;   in Loop: Header=BB9_16 Depth=3
	s_andn2_b64 s[62:63], s[62:63], exec
	s_and_b64 s[64:65], s[64:65], exec
	s_or_b64 s[62:63], s[62:63], s[64:65]
	v_mov_b64_e32 v[14:15], v[44:45]
.LBB9_22:                               ;   in Loop: Header=BB9_16 Depth=3
	v_mov_b64_e32 v[10:11], 0
	v_mov_b64_e32 v[12:13], 0
	s_and_saveexec_b64 s[64:65], s[62:63]
	s_cbranch_execz .LBB9_24
; %bb.23:                               ;   in Loop: Header=BB9_16 Depth=3
	global_load_dwordx4 v[10:13], v[14:15], off
.LBB9_24:                               ;   in Loop: Header=BB9_16 Depth=3
	s_or_b64 exec, exec, s[64:65]
	v_lshl_add_u64 v[16:17], s[60:61], 0, v[22:23]
	v_cmp_gt_i64_e32 vcc, s[22:23], v[16:17]
	s_and_b64 s[62:63], s[6:7], vcc
	s_and_b64 s[62:63], s[62:63], s[58:59]
	s_and_b64 vcc, exec, s[18:19]
	s_waitcnt vmcnt(0)
	ds_write_b128 v27, v[10:13]
	s_cbranch_vccz .LBB9_44
; %bb.25:                               ;   in Loop: Header=BB9_16 Depth=3
	s_mov_b64 s[66:67], 0
	s_mov_b64 s[64:65], 0
                                        ; implicit-def: $vgpr14_vgpr15
	s_and_saveexec_b64 s[68:69], s[62:63]
	s_xor_b64 s[68:69], exec, s[68:69]
; %bb.26:                               ;   in Loop: Header=BB9_16 Depth=3
	v_mul_lo_u32 v12, v17, s22
	v_mul_lo_u32 v13, v16, s23
	v_mad_u64_u32 v[10:11], s[72:73], v16, s22, 0
	v_add3_u32 v11, v11, v13, v12
	s_mov_b64 s[64:65], exec
	v_lshl_add_u64 v[14:15], v[10:11], 4, v[42:43]
; %bb.27:                               ;   in Loop: Header=BB9_16 Depth=3
	s_or_b64 exec, exec, s[68:69]
	s_and_b64 vcc, exec, s[66:67]
	s_cbranch_vccz .LBB9_29
.LBB9_28:                               ;   in Loop: Header=BB9_16 Depth=3
	s_andn2_b64 s[64:65], s[64:65], exec
	s_and_b64 s[62:63], s[62:63], exec
	s_or_b64 s[64:65], s[64:65], s[62:63]
	v_mov_b64_e32 v[14:15], v[46:47]
.LBB9_29:                               ;   in Loop: Header=BB9_16 Depth=3
	v_mov_b64_e32 v[10:11], 0
	v_mov_b64_e32 v[12:13], 0
	s_and_saveexec_b64 s[62:63], s[64:65]
	s_cbranch_execz .LBB9_31
; %bb.30:                               ;   in Loop: Header=BB9_16 Depth=3
	global_load_dwordx4 v[10:13], v[14:15], off
.LBB9_31:                               ;   in Loop: Header=BB9_16 Depth=3
	s_or_b64 exec, exec, s[62:63]
	s_andn2_b64 vcc, exec, s[58:59]
	s_waitcnt vmcnt(0)
	ds_write_b128 v57, v[10:13]
	s_waitcnt lgkmcnt(0)
	s_barrier
	s_cbranch_vccnz .LBB9_15
; %bb.32:                               ;   in Loop: Header=BB9_16 Depth=3
	s_mov_b64 s[62:63], -1
	s_and_b64 vcc, exec, s[36:37]
                                        ; implicit-def: $vgpr54_vgpr55
                                        ; implicit-def: $vgpr52_vgpr53
	s_cbranch_vccz .LBB9_42
; %bb.33:                               ;   in Loop: Header=BB9_16 Depth=3
	s_and_b64 vcc, exec, s[38:39]
                                        ; implicit-def: $vgpr54_vgpr55
                                        ; implicit-def: $vgpr52_vgpr53
	s_cbranch_vccz .LBB9_39
; %bb.34:                               ;   in Loop: Header=BB9_16 Depth=3
	ds_read_b128 v[18:21], v26
	ds_read_b128 v[14:17], v26 offset:512
	ds_read_b128 v[10:13], v26 offset:1024
	s_andn2_b64 vcc, exec, s[40:41]
                                        ; implicit-def: $vgpr54_vgpr55
                                        ; implicit-def: $vgpr52_vgpr53
	s_cbranch_vccnz .LBB9_36
; %bb.35:                               ;   in Loop: Header=BB9_16 Depth=3
	ds_read_b128 v[58:61], v56
	ds_read_b128 v[62:65], v56 offset:16
	ds_read_b128 v[66:69], v56 offset:32
	;; [unrolled: 1-line block ×3, first 2 shown]
	s_mov_b64 s[62:63], 0
	s_waitcnt lgkmcnt(3)
	v_fma_f64 v[52:53], v[18:19], v[58:59], v[50:51]
	v_fma_f64 v[54:55], v[20:21], v[58:59], v[48:49]
	v_fma_f64 v[52:53], -v[20:21], v[60:61], v[52:53]
	v_fmac_f64_e32 v[54:55], v[18:19], v[60:61]
	ds_read_b128 v[58:61], v26 offset:1536
	s_waitcnt lgkmcnt(3)
	v_fmac_f64_e32 v[52:53], v[14:15], v[62:63]
	v_fmac_f64_e32 v[54:55], v[16:17], v[62:63]
	v_fma_f64 v[52:53], -v[16:17], v[64:65], v[52:53]
	v_fmac_f64_e32 v[54:55], v[14:15], v[64:65]
	s_waitcnt lgkmcnt(2)
	v_fmac_f64_e32 v[52:53], v[10:11], v[66:67]
	v_fmac_f64_e32 v[54:55], v[12:13], v[66:67]
	v_fma_f64 v[52:53], -v[12:13], v[68:69], v[52:53]
	v_fmac_f64_e32 v[54:55], v[10:11], v[68:69]
	ds_read_b128 v[62:65], v26 offset:2048
	ds_read_b128 v[66:69], v56 offset:64
	s_waitcnt lgkmcnt(2)
	v_fmac_f64_e32 v[52:53], v[58:59], v[70:71]
	v_fmac_f64_e32 v[54:55], v[60:61], v[70:71]
	v_fma_f64 v[52:53], -v[60:61], v[72:73], v[52:53]
	v_fmac_f64_e32 v[54:55], v[58:59], v[72:73]
	ds_read_b128 v[58:61], v56 offset:80
	ds_read_b128 v[70:73], v26 offset:2560
	;; [unrolled: 7-line block ×28, first 2 shown]
	s_waitcnt lgkmcnt(2)
	v_fmac_f64_e32 v[52:53], v[62:63], v[66:67]
	v_fmac_f64_e32 v[54:55], v[64:65], v[66:67]
	v_fma_f64 v[52:53], -v[64:65], v[68:69], v[52:53]
	v_fmac_f64_e32 v[54:55], v[62:63], v[68:69]
	s_waitcnt lgkmcnt(0)
	v_fmac_f64_e32 v[52:53], v[58:59], v[70:71]
	v_fmac_f64_e32 v[54:55], v[60:61], v[70:71]
	v_fma_f64 v[52:53], -v[60:61], v[72:73], v[52:53]
	v_fmac_f64_e32 v[54:55], v[58:59], v[72:73]
.LBB9_36:                               ;   in Loop: Header=BB9_16 Depth=3
	s_andn2_b64 vcc, exec, s[62:63]
	s_cbranch_vccnz .LBB9_38
; %bb.37:                               ;   in Loop: Header=BB9_16 Depth=3
	ds_read_b128 v[58:61], v56
	ds_read_b128 v[62:65], v56 offset:16
	ds_read_b128 v[66:69], v56 offset:32
	;; [unrolled: 1-line block ×3, first 2 shown]
	s_waitcnt lgkmcnt(3)
	v_fma_f64 v[52:53], v[18:19], v[58:59], v[50:51]
	v_fma_f64 v[54:55], -v[20:21], v[58:59], v[48:49]
	v_fmac_f64_e32 v[52:53], v[20:21], v[60:61]
	v_fmac_f64_e32 v[54:55], v[18:19], v[60:61]
	s_waitcnt lgkmcnt(2)
	v_fmac_f64_e32 v[52:53], v[14:15], v[62:63]
	v_fma_f64 v[18:19], -v[16:17], v[62:63], v[54:55]
	v_fmac_f64_e32 v[52:53], v[16:17], v[64:65]
	v_fmac_f64_e32 v[18:19], v[14:15], v[64:65]
	ds_read_b128 v[14:17], v26 offset:1536
	s_waitcnt lgkmcnt(2)
	v_fmac_f64_e32 v[52:53], v[10:11], v[66:67]
	v_fma_f64 v[54:55], -v[12:13], v[66:67], v[18:19]
	v_fmac_f64_e32 v[52:53], v[12:13], v[68:69]
	v_fmac_f64_e32 v[54:55], v[10:11], v[68:69]
	ds_read_b128 v[10:13], v26 offset:2048
	ds_read_b128 v[18:21], v56 offset:64
	s_waitcnt lgkmcnt(2)
	v_fmac_f64_e32 v[52:53], v[14:15], v[70:71]
	v_fma_f64 v[54:55], -v[16:17], v[70:71], v[54:55]
	v_fmac_f64_e32 v[52:53], v[16:17], v[72:73]
	v_fmac_f64_e32 v[54:55], v[14:15], v[72:73]
	ds_read_b128 v[14:17], v56 offset:80
	;; [unrolled: 7-line block ×28, first 2 shown]
	ds_read_b128 v[58:61], v56 offset:496
	s_waitcnt lgkmcnt(2)
	v_fmac_f64_e32 v[52:53], v[10:11], v[18:19]
	v_fmac_f64_e32 v[52:53], v[12:13], v[20:21]
	v_fma_f64 v[12:13], -v[12:13], v[18:19], v[54:55]
	v_fmac_f64_e32 v[12:13], v[10:11], v[20:21]
	s_waitcnt lgkmcnt(0)
	v_fmac_f64_e32 v[52:53], v[14:15], v[58:59]
	v_fma_f64 v[54:55], -v[16:17], v[58:59], v[12:13]
	v_fmac_f64_e32 v[52:53], v[16:17], v[60:61]
	v_fmac_f64_e32 v[54:55], v[14:15], v[60:61]
.LBB9_38:                               ;   in Loop: Header=BB9_16 Depth=3
	s_mov_b64 s[62:63], 0
.LBB9_39:                               ;   in Loop: Header=BB9_16 Depth=3
	s_andn2_b64 vcc, exec, s[62:63]
	s_cbranch_vccnz .LBB9_41
; %bb.40:                               ;   in Loop: Header=BB9_16 Depth=3
	s_waitcnt lgkmcnt(0)
	ds_read_b128 v[10:13], v26
	ds_read_b128 v[14:17], v56
	ds_read_b128 v[18:21], v56 offset:16
	ds_read_b128 v[58:61], v56 offset:32
	;; [unrolled: 1-line block ×4, first 2 shown]
	s_waitcnt lgkmcnt(4)
	v_fma_f64 v[52:53], v[10:11], v[14:15], v[50:51]
	v_fmac_f64_e32 v[52:53], v[12:13], v[16:17]
	v_fma_f64 v[12:13], v[12:13], v[14:15], v[48:49]
	v_fma_f64 v[14:15], v[10:11], -v[16:17], v[12:13]
	ds_read_b128 v[10:13], v26 offset:1024
	s_waitcnt lgkmcnt(1)
	v_fmac_f64_e32 v[14:15], v[68:69], v[18:19]
	v_fmac_f64_e32 v[52:53], v[66:67], v[18:19]
	v_fma_f64 v[18:19], v[66:67], -v[20:21], v[14:15]
	ds_read_b128 v[14:17], v26 offset:1536
	v_fmac_f64_e32 v[52:53], v[68:69], v[20:21]
	s_waitcnt lgkmcnt(1)
	v_fmac_f64_e32 v[52:53], v[10:11], v[58:59]
	v_fmac_f64_e32 v[18:19], v[12:13], v[58:59]
	v_fmac_f64_e32 v[52:53], v[12:13], v[60:61]
	v_fma_f64 v[54:55], v[10:11], -v[60:61], v[18:19]
	ds_read_b128 v[10:13], v26 offset:2048
	ds_read_b128 v[18:21], v56 offset:64
	s_waitcnt lgkmcnt(2)
	v_fmac_f64_e32 v[52:53], v[14:15], v[62:63]
	v_fmac_f64_e32 v[54:55], v[16:17], v[62:63]
	v_fmac_f64_e32 v[52:53], v[16:17], v[64:65]
	v_fma_f64 v[54:55], v[14:15], -v[64:65], v[54:55]
	ds_read_b128 v[14:17], v26 offset:2560
	ds_read_b128 v[58:61], v56 offset:80
	;; [unrolled: 7-line block ×28, first 2 shown]
	s_waitcnt lgkmcnt(2)
	v_fmac_f64_e32 v[52:53], v[10:11], v[18:19]
	v_fmac_f64_e32 v[54:55], v[12:13], v[18:19]
	;; [unrolled: 1-line block ×3, first 2 shown]
	v_fma_f64 v[10:11], v[10:11], -v[20:21], v[54:55]
	s_waitcnt lgkmcnt(0)
	v_fmac_f64_e32 v[52:53], v[14:15], v[58:59]
	v_fmac_f64_e32 v[10:11], v[16:17], v[58:59]
	;; [unrolled: 1-line block ×3, first 2 shown]
	v_fma_f64 v[54:55], v[14:15], -v[60:61], v[10:11]
.LBB9_41:                               ;   in Loop: Header=BB9_16 Depth=3
	s_mov_b64 s[62:63], 0
.LBB9_42:                               ;   in Loop: Header=BB9_16 Depth=3
	s_andn2_b64 vcc, exec, s[62:63]
	s_cbranch_vccnz .LBB9_14
; %bb.43:                               ;   in Loop: Header=BB9_16 Depth=3
	s_waitcnt lgkmcnt(0)
	ds_read_b128 v[10:13], v26
	ds_read_b128 v[14:17], v56
	ds_read_b128 v[18:21], v56 offset:16
	ds_read_b128 v[52:55], v56 offset:32
	;; [unrolled: 1-line block ×4, first 2 shown]
	s_waitcnt lgkmcnt(4)
	v_fmac_f64_e32 v[50:51], v[10:11], v[14:15]
	v_fma_f64 v[50:51], v[12:13], -v[16:17], v[50:51]
	v_fma_f64 v[12:13], -v[12:13], v[14:15], v[48:49]
	v_fma_f64 v[14:15], v[10:11], -v[16:17], v[12:13]
	ds_read_b128 v[10:13], v26 offset:1024
	s_waitcnt lgkmcnt(1)
	v_fma_f64 v[14:15], -v[64:65], v[18:19], v[14:15]
	v_fmac_f64_e32 v[50:51], v[62:63], v[18:19]
	v_fma_f64 v[18:19], v[62:63], -v[20:21], v[14:15]
	ds_read_b128 v[14:17], v26 offset:1536
	v_fma_f64 v[48:49], v[64:65], -v[20:21], v[50:51]
	s_waitcnt lgkmcnt(1)
	v_fmac_f64_e32 v[48:49], v[10:11], v[52:53]
	v_fma_f64 v[20:21], v[12:13], -v[54:55], v[48:49]
	v_fma_f64 v[12:13], -v[12:13], v[52:53], v[18:19]
	s_waitcnt lgkmcnt(0)
	v_fmac_f64_e32 v[20:21], v[14:15], v[58:59]
	v_fma_f64 v[48:49], v[10:11], -v[54:55], v[12:13]
	v_fma_f64 v[52:53], v[16:17], -v[60:61], v[20:21]
	ds_read_b128 v[10:13], v26 offset:2048
	ds_read_b128 v[18:21], v56 offset:64
	v_fma_f64 v[16:17], -v[16:17], v[58:59], v[48:49]
	v_fma_f64 v[54:55], v[14:15], -v[60:61], v[16:17]
	ds_read_b128 v[14:17], v26 offset:2560
	ds_read_b128 v[48:51], v56 offset:80
	s_waitcnt lgkmcnt(2)
	v_fmac_f64_e32 v[52:53], v[10:11], v[18:19]
	v_fma_f64 v[52:53], v[12:13], -v[20:21], v[52:53]
	v_fma_f64 v[12:13], -v[12:13], v[18:19], v[54:55]
	v_fma_f64 v[54:55], v[10:11], -v[20:21], v[12:13]
	ds_read_b128 v[10:13], v26 offset:3072
	ds_read_b128 v[18:21], v56 offset:96
	s_waitcnt lgkmcnt(2)
	v_fmac_f64_e32 v[52:53], v[14:15], v[48:49]
	v_fma_f64 v[52:53], v[16:17], -v[50:51], v[52:53]
	;; [unrolled: 7-line block ×27, first 2 shown]
	v_fma_f64 v[12:13], -v[12:13], v[18:19], v[54:55]
	v_fma_f64 v[10:11], v[10:11], -v[20:21], v[12:13]
	s_waitcnt lgkmcnt(0)
	v_fmac_f64_e32 v[52:53], v[14:15], v[48:49]
	v_fma_f64 v[10:11], -v[16:17], v[48:49], v[10:11]
	v_fma_f64 v[52:53], v[16:17], -v[50:51], v[52:53]
	v_fma_f64 v[54:55], v[14:15], -v[50:51], v[10:11]
	s_branch .LBB9_14
.LBB9_44:                               ;   in Loop: Header=BB9_16 Depth=3
	s_mov_b64 s[64:65], 0
                                        ; implicit-def: $vgpr14_vgpr15
	s_cbranch_execnz .LBB9_28
	s_branch .LBB9_29
.LBB9_45:                               ;   in Loop: Header=BB9_10 Depth=1
	v_mov_b64_e32 v[48:49], 0
	v_mov_b64_e32 v[50:51], 0
.LBB9_46:                               ;   in Loop: Header=BB9_10 Depth=1
	v_lshl_add_u64 v[10:11], v[36:37], 0, s[20:21]
	s_mov_b64 s[6:7], -1
	s_and_b64 vcc, exec, s[28:29]
                                        ; implicit-def: $vgpr14_vgpr15
	s_cbranch_vccnz .LBB9_49
; %bb.47:                               ;   in Loop: Header=BB9_10 Depth=1
	s_andn2_b64 vcc, exec, s[6:7]
	s_cbranch_vccz .LBB9_50
.LBB9_48:                               ;   in Loop: Header=BB9_10 Depth=1
	v_cmp_gt_i64_e32 vcc, s[22:23], v[36:37]
	s_and_b64 s[54:55], s[42:43], vcc
	s_and_saveexec_b64 s[6:7], s[54:55]
	s_cbranch_execz .LBB9_9
	s_branch .LBB9_51
.LBB9_49:                               ;   in Loop: Header=BB9_10 Depth=1
	v_mad_u64_u32 v[14:15], s[6:7], v10, s26, v[24:25]
	v_mul_lo_u32 v12, v10, s27
	v_mul_lo_u32 v13, v11, s26
	v_add3_u32 v15, v13, v15, v12
	s_cbranch_execnz .LBB9_48
.LBB9_50:                               ;   in Loop: Header=BB9_10 Depth=1
	v_lshl_add_u64 v[14:15], v[10:11], 0, v[30:31]
	v_cmp_gt_i64_e32 vcc, s[22:23], v[36:37]
	s_and_b64 s[54:55], s[42:43], vcc
	s_and_saveexec_b64 s[6:7], s[54:55]
	s_cbranch_execz .LBB9_9
.LBB9_51:                               ;   in Loop: Header=BB9_10 Depth=1
	v_mul_f64 v[10:11], v[48:49], -v[4:5]
	v_mul_f64 v[12:13], v[2:3], v[48:49]
	v_lshl_add_u64 v[14:15], v[14:15], 4, s[24:25]
	v_fmac_f64_e32 v[10:11], v[2:3], v[50:51]
	v_fmac_f64_e32 v[12:13], v[4:5], v[50:51]
	s_and_saveexec_b64 s[54:55], s[44:45]
	s_xor_b64 s[54:55], exec, s[54:55]
	s_cbranch_execz .LBB9_53
; %bb.52:                               ;   in Loop: Header=BB9_10 Depth=1
	global_load_dwordx4 v[16:19], v[14:15], off
	s_waitcnt vmcnt(0)
	v_fmac_f64_e32 v[10:11], v[6:7], v[16:17]
	v_fmac_f64_e32 v[12:13], v[8:9], v[16:17]
	v_fma_f64 v[10:11], -v[8:9], v[18:19], v[10:11]
	v_fmac_f64_e32 v[12:13], v[6:7], v[18:19]
	global_store_dwordx4 v[14:15], v[10:13], off
                                        ; implicit-def: $vgpr10_vgpr11
                                        ; implicit-def: $vgpr14_vgpr15
.LBB9_53:                               ;   in Loop: Header=BB9_10 Depth=1
	s_andn2_saveexec_b64 s[54:55], s[54:55]
	s_cbranch_execz .LBB9_9
; %bb.54:                               ;   in Loop: Header=BB9_10 Depth=1
	global_store_dwordx4 v[14:15], v[10:13], off
	s_branch .LBB9_9
.LBB9_55:
	s_endpgm
.LBB9_56:
                                        ; implicit-def: $sgpr30_sgpr31
	s_branch .LBB9_6
	.section	.rodata,"a",@progbits
	.p2align	6, 0x0
	.amdhsa_kernel _ZN9rocsparseL30bellmm_general_blockdim_kernelILi32ELi32E21rocsparse_complex_numIdElS2_S2_S2_EEv20rocsparse_operation_S3_20rocsparse_direction_T2_S5_NS_24const_host_device_scalarIT1_EES5_S5_PKS5_PKT3_PKT4_l16rocsparse_order_S8_PT5_lSH_21rocsparse_index_base_b
		.amdhsa_group_segment_fixed_size 32768
		.amdhsa_private_segment_fixed_size 0
		.amdhsa_kernarg_size 148
		.amdhsa_user_sgpr_count 2
		.amdhsa_user_sgpr_dispatch_ptr 0
		.amdhsa_user_sgpr_queue_ptr 0
		.amdhsa_user_sgpr_kernarg_segment_ptr 1
		.amdhsa_user_sgpr_dispatch_id 0
		.amdhsa_user_sgpr_kernarg_preload_length 0
		.amdhsa_user_sgpr_kernarg_preload_offset 0
		.amdhsa_user_sgpr_private_segment_size 0
		.amdhsa_uses_dynamic_stack 0
		.amdhsa_enable_private_segment 0
		.amdhsa_system_sgpr_workgroup_id_x 1
		.amdhsa_system_sgpr_workgroup_id_y 1
		.amdhsa_system_sgpr_workgroup_id_z 0
		.amdhsa_system_sgpr_workgroup_info 0
		.amdhsa_system_vgpr_workitem_id 1
		.amdhsa_next_free_vgpr 74
		.amdhsa_next_free_sgpr 74
		.amdhsa_accum_offset 76
		.amdhsa_reserve_vcc 1
		.amdhsa_float_round_mode_32 0
		.amdhsa_float_round_mode_16_64 0
		.amdhsa_float_denorm_mode_32 3
		.amdhsa_float_denorm_mode_16_64 3
		.amdhsa_dx10_clamp 1
		.amdhsa_ieee_mode 1
		.amdhsa_fp16_overflow 0
		.amdhsa_tg_split 0
		.amdhsa_exception_fp_ieee_invalid_op 0
		.amdhsa_exception_fp_denorm_src 0
		.amdhsa_exception_fp_ieee_div_zero 0
		.amdhsa_exception_fp_ieee_overflow 0
		.amdhsa_exception_fp_ieee_underflow 0
		.amdhsa_exception_fp_ieee_inexact 0
		.amdhsa_exception_int_div_zero 0
	.end_amdhsa_kernel
	.section	.text._ZN9rocsparseL30bellmm_general_blockdim_kernelILi32ELi32E21rocsparse_complex_numIdElS2_S2_S2_EEv20rocsparse_operation_S3_20rocsparse_direction_T2_S5_NS_24const_host_device_scalarIT1_EES5_S5_PKS5_PKT3_PKT4_l16rocsparse_order_S8_PT5_lSH_21rocsparse_index_base_b,"axG",@progbits,_ZN9rocsparseL30bellmm_general_blockdim_kernelILi32ELi32E21rocsparse_complex_numIdElS2_S2_S2_EEv20rocsparse_operation_S3_20rocsparse_direction_T2_S5_NS_24const_host_device_scalarIT1_EES5_S5_PKS5_PKT3_PKT4_l16rocsparse_order_S8_PT5_lSH_21rocsparse_index_base_b,comdat
.Lfunc_end9:
	.size	_ZN9rocsparseL30bellmm_general_blockdim_kernelILi32ELi32E21rocsparse_complex_numIdElS2_S2_S2_EEv20rocsparse_operation_S3_20rocsparse_direction_T2_S5_NS_24const_host_device_scalarIT1_EES5_S5_PKS5_PKT3_PKT4_l16rocsparse_order_S8_PT5_lSH_21rocsparse_index_base_b, .Lfunc_end9-_ZN9rocsparseL30bellmm_general_blockdim_kernelILi32ELi32E21rocsparse_complex_numIdElS2_S2_S2_EEv20rocsparse_operation_S3_20rocsparse_direction_T2_S5_NS_24const_host_device_scalarIT1_EES5_S5_PKS5_PKT3_PKT4_l16rocsparse_order_S8_PT5_lSH_21rocsparse_index_base_b
                                        ; -- End function
	.set _ZN9rocsparseL30bellmm_general_blockdim_kernelILi32ELi32E21rocsparse_complex_numIdElS2_S2_S2_EEv20rocsparse_operation_S3_20rocsparse_direction_T2_S5_NS_24const_host_device_scalarIT1_EES5_S5_PKS5_PKT3_PKT4_l16rocsparse_order_S8_PT5_lSH_21rocsparse_index_base_b.num_vgpr, 74
	.set _ZN9rocsparseL30bellmm_general_blockdim_kernelILi32ELi32E21rocsparse_complex_numIdElS2_S2_S2_EEv20rocsparse_operation_S3_20rocsparse_direction_T2_S5_NS_24const_host_device_scalarIT1_EES5_S5_PKS5_PKT3_PKT4_l16rocsparse_order_S8_PT5_lSH_21rocsparse_index_base_b.num_agpr, 0
	.set _ZN9rocsparseL30bellmm_general_blockdim_kernelILi32ELi32E21rocsparse_complex_numIdElS2_S2_S2_EEv20rocsparse_operation_S3_20rocsparse_direction_T2_S5_NS_24const_host_device_scalarIT1_EES5_S5_PKS5_PKT3_PKT4_l16rocsparse_order_S8_PT5_lSH_21rocsparse_index_base_b.numbered_sgpr, 74
	.set _ZN9rocsparseL30bellmm_general_blockdim_kernelILi32ELi32E21rocsparse_complex_numIdElS2_S2_S2_EEv20rocsparse_operation_S3_20rocsparse_direction_T2_S5_NS_24const_host_device_scalarIT1_EES5_S5_PKS5_PKT3_PKT4_l16rocsparse_order_S8_PT5_lSH_21rocsparse_index_base_b.num_named_barrier, 0
	.set _ZN9rocsparseL30bellmm_general_blockdim_kernelILi32ELi32E21rocsparse_complex_numIdElS2_S2_S2_EEv20rocsparse_operation_S3_20rocsparse_direction_T2_S5_NS_24const_host_device_scalarIT1_EES5_S5_PKS5_PKT3_PKT4_l16rocsparse_order_S8_PT5_lSH_21rocsparse_index_base_b.private_seg_size, 0
	.set _ZN9rocsparseL30bellmm_general_blockdim_kernelILi32ELi32E21rocsparse_complex_numIdElS2_S2_S2_EEv20rocsparse_operation_S3_20rocsparse_direction_T2_S5_NS_24const_host_device_scalarIT1_EES5_S5_PKS5_PKT3_PKT4_l16rocsparse_order_S8_PT5_lSH_21rocsparse_index_base_b.uses_vcc, 1
	.set _ZN9rocsparseL30bellmm_general_blockdim_kernelILi32ELi32E21rocsparse_complex_numIdElS2_S2_S2_EEv20rocsparse_operation_S3_20rocsparse_direction_T2_S5_NS_24const_host_device_scalarIT1_EES5_S5_PKS5_PKT3_PKT4_l16rocsparse_order_S8_PT5_lSH_21rocsparse_index_base_b.uses_flat_scratch, 0
	.set _ZN9rocsparseL30bellmm_general_blockdim_kernelILi32ELi32E21rocsparse_complex_numIdElS2_S2_S2_EEv20rocsparse_operation_S3_20rocsparse_direction_T2_S5_NS_24const_host_device_scalarIT1_EES5_S5_PKS5_PKT3_PKT4_l16rocsparse_order_S8_PT5_lSH_21rocsparse_index_base_b.has_dyn_sized_stack, 0
	.set _ZN9rocsparseL30bellmm_general_blockdim_kernelILi32ELi32E21rocsparse_complex_numIdElS2_S2_S2_EEv20rocsparse_operation_S3_20rocsparse_direction_T2_S5_NS_24const_host_device_scalarIT1_EES5_S5_PKS5_PKT3_PKT4_l16rocsparse_order_S8_PT5_lSH_21rocsparse_index_base_b.has_recursion, 0
	.set _ZN9rocsparseL30bellmm_general_blockdim_kernelILi32ELi32E21rocsparse_complex_numIdElS2_S2_S2_EEv20rocsparse_operation_S3_20rocsparse_direction_T2_S5_NS_24const_host_device_scalarIT1_EES5_S5_PKS5_PKT3_PKT4_l16rocsparse_order_S8_PT5_lSH_21rocsparse_index_base_b.has_indirect_call, 0
	.section	.AMDGPU.csdata,"",@progbits
; Kernel info:
; codeLenInByte = 7728
; TotalNumSgprs: 80
; NumVgprs: 74
; NumAgprs: 0
; TotalNumVgprs: 74
; ScratchSize: 0
; MemoryBound: 1
; FloatMode: 240
; IeeeMode: 1
; LDSByteSize: 32768 bytes/workgroup (compile time only)
; SGPRBlocks: 9
; VGPRBlocks: 9
; NumSGPRsForWavesPerEU: 80
; NumVGPRsForWavesPerEU: 74
; AccumOffset: 76
; Occupancy: 6
; WaveLimiterHint : 1
; COMPUTE_PGM_RSRC2:SCRATCH_EN: 0
; COMPUTE_PGM_RSRC2:USER_SGPR: 2
; COMPUTE_PGM_RSRC2:TRAP_HANDLER: 0
; COMPUTE_PGM_RSRC2:TGID_X_EN: 1
; COMPUTE_PGM_RSRC2:TGID_Y_EN: 1
; COMPUTE_PGM_RSRC2:TGID_Z_EN: 0
; COMPUTE_PGM_RSRC2:TIDIG_COMP_CNT: 1
; COMPUTE_PGM_RSRC3_GFX90A:ACCUM_OFFSET: 18
; COMPUTE_PGM_RSRC3_GFX90A:TG_SPLIT: 0
	.section	.AMDGPU.gpr_maximums,"",@progbits
	.set amdgpu.max_num_vgpr, 0
	.set amdgpu.max_num_agpr, 0
	.set amdgpu.max_num_sgpr, 0
	.section	.AMDGPU.csdata,"",@progbits
	.type	__hip_cuid_5d9a5c4ff385fa95,@object ; @__hip_cuid_5d9a5c4ff385fa95
	.section	.bss,"aw",@nobits
	.globl	__hip_cuid_5d9a5c4ff385fa95
__hip_cuid_5d9a5c4ff385fa95:
	.byte	0                               ; 0x0
	.size	__hip_cuid_5d9a5c4ff385fa95, 1

	.ident	"AMD clang version 22.0.0git (https://github.com/RadeonOpenCompute/llvm-project roc-7.2.4 26084 f58b06dce1f9c15707c5f808fd002e18c2accf7e)"
	.section	".note.GNU-stack","",@progbits
	.addrsig
	.addrsig_sym __hip_cuid_5d9a5c4ff385fa95
	.amdgpu_metadata
---
amdhsa.kernels:
  - .agpr_count:     0
    .args:
      - .offset:         0
        .size:           4
        .value_kind:     by_value
      - .offset:         4
        .size:           4
        .value_kind:     by_value
      - .offset:         8
        .size:           4
        .value_kind:     by_value
      - .offset:         12
        .size:           4
        .value_kind:     by_value
      - .offset:         16
        .size:           4
        .value_kind:     by_value
      - .offset:         24
        .size:           8
        .value_kind:     by_value
      - .offset:         32
        .size:           4
        .value_kind:     by_value
      - .offset:         36
        .size:           4
        .value_kind:     by_value
      - .actual_access:  read_only
        .address_space:  global
        .offset:         40
        .size:           8
        .value_kind:     global_buffer
      - .actual_access:  read_only
        .address_space:  global
        .offset:         48
        .size:           8
        .value_kind:     global_buffer
      - .actual_access:  read_only
        .address_space:  global
        .offset:         56
        .size:           8
        .value_kind:     global_buffer
      - .offset:         64
        .size:           8
        .value_kind:     by_value
      - .offset:         72
        .size:           4
        .value_kind:     by_value
      - .offset:         80
        .size:           8
        .value_kind:     by_value
      - .address_space:  global
        .offset:         88
        .size:           8
        .value_kind:     global_buffer
      - .offset:         96
        .size:           8
        .value_kind:     by_value
      - .offset:         104
        .size:           4
        .value_kind:     by_value
      - .offset:         108
        .size:           4
        .value_kind:     by_value
      - .offset:         112
        .size:           1
        .value_kind:     by_value
    .group_segment_fixed_size: 8192
    .kernarg_segment_align: 8
    .kernarg_segment_size: 116
    .language:       OpenCL C
    .language_version:
      - 2
      - 0
    .max_flat_workgroup_size: 1024
    .name:           _ZN9rocsparseL30bellmm_general_blockdim_kernelILi32ELi32EiiiiiEEv20rocsparse_operation_S1_20rocsparse_direction_T2_S3_NS_24const_host_device_scalarIT1_EES3_S3_PKS3_PKT3_PKT4_l16rocsparse_order_S6_PT5_lSF_21rocsparse_index_base_b
    .private_segment_fixed_size: 0
    .sgpr_count:     59
    .sgpr_spill_count: 0
    .symbol:         _ZN9rocsparseL30bellmm_general_blockdim_kernelILi32ELi32EiiiiiEEv20rocsparse_operation_S1_20rocsparse_direction_T2_S3_NS_24const_host_device_scalarIT1_EES3_S3_PKS3_PKT3_PKT4_l16rocsparse_order_S6_PT5_lSF_21rocsparse_index_base_b.kd
    .uniform_work_group_size: 1
    .uses_dynamic_stack: false
    .vgpr_count:     46
    .vgpr_spill_count: 0
    .wavefront_size: 64
  - .agpr_count:     0
    .args:
      - .offset:         0
        .size:           4
        .value_kind:     by_value
      - .offset:         4
        .size:           4
        .value_kind:     by_value
      - .offset:         8
        .size:           4
        .value_kind:     by_value
      - .offset:         16
        .size:           8
        .value_kind:     by_value
      - .offset:         24
        .size:           8
        .value_kind:     by_value
      - .offset:         32
        .size:           8
        .value_kind:     by_value
      - .offset:         40
        .size:           8
        .value_kind:     by_value
      - .offset:         48
        .size:           8
        .value_kind:     by_value
      - .actual_access:  read_only
        .address_space:  global
        .offset:         56
        .size:           8
        .value_kind:     global_buffer
      - .actual_access:  read_only
        .address_space:  global
        .offset:         64
        .size:           8
        .value_kind:     global_buffer
      - .actual_access:  read_only
        .address_space:  global
        .offset:         72
        .size:           8
        .value_kind:     global_buffer
      - .offset:         80
        .size:           8
        .value_kind:     by_value
      - .offset:         88
        .size:           4
        .value_kind:     by_value
      - .offset:         96
        .size:           8
        .value_kind:     by_value
      - .address_space:  global
        .offset:         104
        .size:           8
        .value_kind:     global_buffer
      - .offset:         112
        .size:           8
        .value_kind:     by_value
      - .offset:         120
        .size:           4
        .value_kind:     by_value
      - .offset:         124
        .size:           4
        .value_kind:     by_value
      - .offset:         128
        .size:           1
        .value_kind:     by_value
    .group_segment_fixed_size: 8192
    .kernarg_segment_align: 8
    .kernarg_segment_size: 132
    .language:       OpenCL C
    .language_version:
      - 2
      - 0
    .max_flat_workgroup_size: 1024
    .name:           _ZN9rocsparseL30bellmm_general_blockdim_kernelILi32ELi32EiliiiEEv20rocsparse_operation_S1_20rocsparse_direction_T2_S3_NS_24const_host_device_scalarIT1_EES3_S3_PKS3_PKT3_PKT4_l16rocsparse_order_S6_PT5_lSF_21rocsparse_index_base_b
    .private_segment_fixed_size: 0
    .sgpr_count:     65
    .sgpr_spill_count: 0
    .symbol:         _ZN9rocsparseL30bellmm_general_blockdim_kernelILi32ELi32EiliiiEEv20rocsparse_operation_S1_20rocsparse_direction_T2_S3_NS_24const_host_device_scalarIT1_EES3_S3_PKS3_PKT3_PKT4_l16rocsparse_order_S6_PT5_lSF_21rocsparse_index_base_b.kd
    .uniform_work_group_size: 1
    .uses_dynamic_stack: false
    .vgpr_count:     58
    .vgpr_spill_count: 0
    .wavefront_size: 64
  - .agpr_count:     0
    .args:
      - .offset:         0
        .size:           4
        .value_kind:     by_value
      - .offset:         4
        .size:           4
        .value_kind:     by_value
      - .offset:         8
        .size:           4
        .value_kind:     by_value
      - .offset:         12
        .size:           4
        .value_kind:     by_value
      - .offset:         16
        .size:           4
        .value_kind:     by_value
      - .offset:         24
        .size:           8
        .value_kind:     by_value
      - .offset:         32
        .size:           4
        .value_kind:     by_value
      - .offset:         36
        .size:           4
        .value_kind:     by_value
      - .actual_access:  read_only
        .address_space:  global
        .offset:         40
        .size:           8
        .value_kind:     global_buffer
      - .actual_access:  read_only
        .address_space:  global
        .offset:         48
        .size:           8
        .value_kind:     global_buffer
      - .actual_access:  read_only
        .address_space:  global
        .offset:         56
        .size:           8
        .value_kind:     global_buffer
      - .offset:         64
        .size:           8
        .value_kind:     by_value
      - .offset:         72
        .size:           4
        .value_kind:     by_value
      - .offset:         80
        .size:           8
        .value_kind:     by_value
      - .address_space:  global
        .offset:         88
        .size:           8
        .value_kind:     global_buffer
      - .offset:         96
        .size:           8
        .value_kind:     by_value
      - .offset:         104
        .size:           4
        .value_kind:     by_value
      - .offset:         108
        .size:           4
        .value_kind:     by_value
      - .offset:         112
        .size:           1
        .value_kind:     by_value
    .group_segment_fixed_size: 8192
    .kernarg_segment_align: 8
    .kernarg_segment_size: 116
    .language:       OpenCL C
    .language_version:
      - 2
      - 0
    .max_flat_workgroup_size: 1024
    .name:           _ZN9rocsparseL30bellmm_general_blockdim_kernelILi32ELi32EfifffEEv20rocsparse_operation_S1_20rocsparse_direction_T2_S3_NS_24const_host_device_scalarIT1_EES3_S3_PKS3_PKT3_PKT4_l16rocsparse_order_S6_PT5_lSF_21rocsparse_index_base_b
    .private_segment_fixed_size: 0
    .sgpr_count:     59
    .sgpr_spill_count: 0
    .symbol:         _ZN9rocsparseL30bellmm_general_blockdim_kernelILi32ELi32EfifffEEv20rocsparse_operation_S1_20rocsparse_direction_T2_S3_NS_24const_host_device_scalarIT1_EES3_S3_PKS3_PKT3_PKT4_l16rocsparse_order_S6_PT5_lSF_21rocsparse_index_base_b.kd
    .uniform_work_group_size: 1
    .uses_dynamic_stack: false
    .vgpr_count:     48
    .vgpr_spill_count: 0
    .wavefront_size: 64
  - .agpr_count:     0
    .args:
      - .offset:         0
        .size:           4
        .value_kind:     by_value
      - .offset:         4
        .size:           4
        .value_kind:     by_value
      - .offset:         8
        .size:           4
        .value_kind:     by_value
      - .offset:         16
        .size:           8
        .value_kind:     by_value
      - .offset:         24
        .size:           8
        .value_kind:     by_value
      - .offset:         32
        .size:           8
        .value_kind:     by_value
      - .offset:         40
        .size:           8
        .value_kind:     by_value
      - .offset:         48
        .size:           8
        .value_kind:     by_value
      - .actual_access:  read_only
        .address_space:  global
        .offset:         56
        .size:           8
        .value_kind:     global_buffer
      - .actual_access:  read_only
        .address_space:  global
        .offset:         64
        .size:           8
        .value_kind:     global_buffer
      - .actual_access:  read_only
        .address_space:  global
        .offset:         72
        .size:           8
        .value_kind:     global_buffer
      - .offset:         80
        .size:           8
        .value_kind:     by_value
      - .offset:         88
        .size:           4
        .value_kind:     by_value
      - .offset:         96
        .size:           8
        .value_kind:     by_value
      - .address_space:  global
        .offset:         104
        .size:           8
        .value_kind:     global_buffer
      - .offset:         112
        .size:           8
        .value_kind:     by_value
      - .offset:         120
        .size:           4
        .value_kind:     by_value
      - .offset:         124
        .size:           4
        .value_kind:     by_value
      - .offset:         128
        .size:           1
        .value_kind:     by_value
    .group_segment_fixed_size: 8192
    .kernarg_segment_align: 8
    .kernarg_segment_size: 132
    .language:       OpenCL C
    .language_version:
      - 2
      - 0
    .max_flat_workgroup_size: 1024
    .name:           _ZN9rocsparseL30bellmm_general_blockdim_kernelILi32ELi32EflfffEEv20rocsparse_operation_S1_20rocsparse_direction_T2_S3_NS_24const_host_device_scalarIT1_EES3_S3_PKS3_PKT3_PKT4_l16rocsparse_order_S6_PT5_lSF_21rocsparse_index_base_b
    .private_segment_fixed_size: 0
    .sgpr_count:     68
    .sgpr_spill_count: 0
    .symbol:         _ZN9rocsparseL30bellmm_general_blockdim_kernelILi32ELi32EflfffEEv20rocsparse_operation_S1_20rocsparse_direction_T2_S3_NS_24const_host_device_scalarIT1_EES3_S3_PKS3_PKT3_PKT4_l16rocsparse_order_S6_PT5_lSF_21rocsparse_index_base_b.kd
    .uniform_work_group_size: 1
    .uses_dynamic_stack: false
    .vgpr_count:     60
    .vgpr_spill_count: 0
    .wavefront_size: 64
  - .agpr_count:     0
    .args:
      - .offset:         0
        .size:           4
        .value_kind:     by_value
      - .offset:         4
        .size:           4
        .value_kind:     by_value
      - .offset:         8
        .size:           4
        .value_kind:     by_value
      - .offset:         12
        .size:           4
        .value_kind:     by_value
      - .offset:         16
        .size:           4
        .value_kind:     by_value
      - .offset:         24
        .size:           8
        .value_kind:     by_value
      - .offset:         32
        .size:           4
        .value_kind:     by_value
      - .offset:         36
        .size:           4
        .value_kind:     by_value
      - .actual_access:  read_only
        .address_space:  global
        .offset:         40
        .size:           8
        .value_kind:     global_buffer
      - .actual_access:  read_only
        .address_space:  global
        .offset:         48
        .size:           8
        .value_kind:     global_buffer
      - .actual_access:  read_only
        .address_space:  global
        .offset:         56
        .size:           8
        .value_kind:     global_buffer
      - .offset:         64
        .size:           8
        .value_kind:     by_value
      - .offset:         72
        .size:           4
        .value_kind:     by_value
      - .offset:         80
        .size:           8
        .value_kind:     by_value
      - .address_space:  global
        .offset:         88
        .size:           8
        .value_kind:     global_buffer
      - .offset:         96
        .size:           8
        .value_kind:     by_value
      - .offset:         104
        .size:           4
        .value_kind:     by_value
      - .offset:         108
        .size:           4
        .value_kind:     by_value
      - .offset:         112
        .size:           1
        .value_kind:     by_value
    .group_segment_fixed_size: 16384
    .kernarg_segment_align: 8
    .kernarg_segment_size: 116
    .language:       OpenCL C
    .language_version:
      - 2
      - 0
    .max_flat_workgroup_size: 1024
    .name:           _ZN9rocsparseL30bellmm_general_blockdim_kernelILi32ELi32EdidddEEv20rocsparse_operation_S1_20rocsparse_direction_T2_S3_NS_24const_host_device_scalarIT1_EES3_S3_PKS3_PKT3_PKT4_l16rocsparse_order_S6_PT5_lSF_21rocsparse_index_base_b
    .private_segment_fixed_size: 0
    .sgpr_count:     57
    .sgpr_spill_count: 0
    .symbol:         _ZN9rocsparseL30bellmm_general_blockdim_kernelILi32ELi32EdidddEEv20rocsparse_operation_S1_20rocsparse_direction_T2_S3_NS_24const_host_device_scalarIT1_EES3_S3_PKS3_PKT3_PKT4_l16rocsparse_order_S6_PT5_lSF_21rocsparse_index_base_b.kd
    .uniform_work_group_size: 1
    .uses_dynamic_stack: false
    .vgpr_count:     60
    .vgpr_spill_count: 0
    .wavefront_size: 64
  - .agpr_count:     0
    .args:
      - .offset:         0
        .size:           4
        .value_kind:     by_value
      - .offset:         4
        .size:           4
        .value_kind:     by_value
      - .offset:         8
        .size:           4
        .value_kind:     by_value
      - .offset:         16
        .size:           8
        .value_kind:     by_value
      - .offset:         24
        .size:           8
        .value_kind:     by_value
      - .offset:         32
        .size:           8
        .value_kind:     by_value
      - .offset:         40
        .size:           8
        .value_kind:     by_value
      - .offset:         48
        .size:           8
        .value_kind:     by_value
      - .actual_access:  read_only
        .address_space:  global
        .offset:         56
        .size:           8
        .value_kind:     global_buffer
      - .actual_access:  read_only
        .address_space:  global
        .offset:         64
        .size:           8
        .value_kind:     global_buffer
      - .actual_access:  read_only
        .address_space:  global
        .offset:         72
        .size:           8
        .value_kind:     global_buffer
      - .offset:         80
        .size:           8
        .value_kind:     by_value
      - .offset:         88
        .size:           4
        .value_kind:     by_value
      - .offset:         96
        .size:           8
        .value_kind:     by_value
      - .address_space:  global
        .offset:         104
        .size:           8
        .value_kind:     global_buffer
      - .offset:         112
        .size:           8
        .value_kind:     by_value
      - .offset:         120
        .size:           4
        .value_kind:     by_value
      - .offset:         124
        .size:           4
        .value_kind:     by_value
      - .offset:         128
        .size:           1
        .value_kind:     by_value
    .group_segment_fixed_size: 16384
    .kernarg_segment_align: 8
    .kernarg_segment_size: 132
    .language:       OpenCL C
    .language_version:
      - 2
      - 0
    .max_flat_workgroup_size: 1024
    .name:           _ZN9rocsparseL30bellmm_general_blockdim_kernelILi32ELi32EdldddEEv20rocsparse_operation_S1_20rocsparse_direction_T2_S3_NS_24const_host_device_scalarIT1_EES3_S3_PKS3_PKT3_PKT4_l16rocsparse_order_S6_PT5_lSF_21rocsparse_index_base_b
    .private_segment_fixed_size: 0
    .sgpr_count:     64
    .sgpr_spill_count: 0
    .symbol:         _ZN9rocsparseL30bellmm_general_blockdim_kernelILi32ELi32EdldddEEv20rocsparse_operation_S1_20rocsparse_direction_T2_S3_NS_24const_host_device_scalarIT1_EES3_S3_PKS3_PKT3_PKT4_l16rocsparse_order_S6_PT5_lSF_21rocsparse_index_base_b.kd
    .uniform_work_group_size: 1
    .uses_dynamic_stack: false
    .vgpr_count:     74
    .vgpr_spill_count: 0
    .wavefront_size: 64
  - .agpr_count:     0
    .args:
      - .offset:         0
        .size:           4
        .value_kind:     by_value
      - .offset:         4
        .size:           4
        .value_kind:     by_value
      - .offset:         8
        .size:           4
        .value_kind:     by_value
      - .offset:         12
        .size:           4
        .value_kind:     by_value
      - .offset:         16
        .size:           4
        .value_kind:     by_value
      - .offset:         24
        .size:           8
        .value_kind:     by_value
      - .offset:         32
        .size:           4
        .value_kind:     by_value
      - .offset:         36
        .size:           4
        .value_kind:     by_value
      - .actual_access:  read_only
        .address_space:  global
        .offset:         40
        .size:           8
        .value_kind:     global_buffer
      - .actual_access:  read_only
        .address_space:  global
        .offset:         48
        .size:           8
        .value_kind:     global_buffer
      - .actual_access:  read_only
        .address_space:  global
        .offset:         56
        .size:           8
        .value_kind:     global_buffer
      - .offset:         64
        .size:           8
        .value_kind:     by_value
      - .offset:         72
        .size:           4
        .value_kind:     by_value
      - .offset:         80
        .size:           8
        .value_kind:     by_value
      - .address_space:  global
        .offset:         88
        .size:           8
        .value_kind:     global_buffer
      - .offset:         96
        .size:           8
        .value_kind:     by_value
      - .offset:         104
        .size:           4
        .value_kind:     by_value
      - .offset:         108
        .size:           4
        .value_kind:     by_value
      - .offset:         112
        .size:           1
        .value_kind:     by_value
    .group_segment_fixed_size: 16384
    .kernarg_segment_align: 8
    .kernarg_segment_size: 116
    .language:       OpenCL C
    .language_version:
      - 2
      - 0
    .max_flat_workgroup_size: 1024
    .name:           _ZN9rocsparseL30bellmm_general_blockdim_kernelILi32ELi32E21rocsparse_complex_numIfEiS2_S2_S2_EEv20rocsparse_operation_S3_20rocsparse_direction_T2_S5_NS_24const_host_device_scalarIT1_EES5_S5_PKS5_PKT3_PKT4_l16rocsparse_order_S8_PT5_lSH_21rocsparse_index_base_b
    .private_segment_fixed_size: 0
    .sgpr_count:     66
    .sgpr_spill_count: 0
    .symbol:         _ZN9rocsparseL30bellmm_general_blockdim_kernelILi32ELi32E21rocsparse_complex_numIfEiS2_S2_S2_EEv20rocsparse_operation_S3_20rocsparse_direction_T2_S5_NS_24const_host_device_scalarIT1_EES5_S5_PKS5_PKT3_PKT4_l16rocsparse_order_S8_PT5_lSH_21rocsparse_index_base_b.kd
    .uniform_work_group_size: 1
    .uses_dynamic_stack: false
    .vgpr_count:     76
    .vgpr_spill_count: 0
    .wavefront_size: 64
  - .agpr_count:     0
    .args:
      - .offset:         0
        .size:           4
        .value_kind:     by_value
      - .offset:         4
        .size:           4
        .value_kind:     by_value
      - .offset:         8
        .size:           4
        .value_kind:     by_value
      - .offset:         16
        .size:           8
        .value_kind:     by_value
      - .offset:         24
        .size:           8
        .value_kind:     by_value
      - .offset:         32
        .size:           8
        .value_kind:     by_value
      - .offset:         40
        .size:           8
        .value_kind:     by_value
      - .offset:         48
        .size:           8
        .value_kind:     by_value
      - .actual_access:  read_only
        .address_space:  global
        .offset:         56
        .size:           8
        .value_kind:     global_buffer
      - .actual_access:  read_only
        .address_space:  global
        .offset:         64
        .size:           8
        .value_kind:     global_buffer
      - .actual_access:  read_only
        .address_space:  global
        .offset:         72
        .size:           8
        .value_kind:     global_buffer
      - .offset:         80
        .size:           8
        .value_kind:     by_value
      - .offset:         88
        .size:           4
        .value_kind:     by_value
      - .offset:         96
        .size:           8
        .value_kind:     by_value
      - .address_space:  global
        .offset:         104
        .size:           8
        .value_kind:     global_buffer
      - .offset:         112
        .size:           8
        .value_kind:     by_value
      - .offset:         120
        .size:           4
        .value_kind:     by_value
      - .offset:         124
        .size:           4
        .value_kind:     by_value
      - .offset:         128
        .size:           1
        .value_kind:     by_value
    .group_segment_fixed_size: 16384
    .kernarg_segment_align: 8
    .kernarg_segment_size: 132
    .language:       OpenCL C
    .language_version:
      - 2
      - 0
    .max_flat_workgroup_size: 1024
    .name:           _ZN9rocsparseL30bellmm_general_blockdim_kernelILi32ELi32E21rocsparse_complex_numIfElS2_S2_S2_EEv20rocsparse_operation_S3_20rocsparse_direction_T2_S5_NS_24const_host_device_scalarIT1_EES5_S5_PKS5_PKT3_PKT4_l16rocsparse_order_S8_PT5_lSH_21rocsparse_index_base_b
    .private_segment_fixed_size: 0
    .sgpr_count:     80
    .sgpr_spill_count: 0
    .symbol:         _ZN9rocsparseL30bellmm_general_blockdim_kernelILi32ELi32E21rocsparse_complex_numIfElS2_S2_S2_EEv20rocsparse_operation_S3_20rocsparse_direction_T2_S5_NS_24const_host_device_scalarIT1_EES5_S5_PKS5_PKT3_PKT4_l16rocsparse_order_S8_PT5_lSH_21rocsparse_index_base_b.kd
    .uniform_work_group_size: 1
    .uses_dynamic_stack: false
    .vgpr_count:     88
    .vgpr_spill_count: 0
    .wavefront_size: 64
  - .agpr_count:     0
    .args:
      - .offset:         0
        .size:           4
        .value_kind:     by_value
      - .offset:         4
        .size:           4
        .value_kind:     by_value
      - .offset:         8
        .size:           4
        .value_kind:     by_value
      - .offset:         12
        .size:           4
        .value_kind:     by_value
      - .offset:         16
        .size:           4
        .value_kind:     by_value
      - .offset:         24
        .size:           16
        .value_kind:     by_value
      - .offset:         40
        .size:           4
        .value_kind:     by_value
      - .offset:         44
        .size:           4
        .value_kind:     by_value
      - .actual_access:  read_only
        .address_space:  global
        .offset:         48
        .size:           8
        .value_kind:     global_buffer
      - .actual_access:  read_only
        .address_space:  global
        .offset:         56
        .size:           8
        .value_kind:     global_buffer
      - .actual_access:  read_only
        .address_space:  global
        .offset:         64
        .size:           8
        .value_kind:     global_buffer
      - .offset:         72
        .size:           8
        .value_kind:     by_value
      - .offset:         80
        .size:           4
        .value_kind:     by_value
      - .offset:         88
        .size:           16
        .value_kind:     by_value
      - .address_space:  global
        .offset:         104
        .size:           8
        .value_kind:     global_buffer
      - .offset:         112
        .size:           8
        .value_kind:     by_value
      - .offset:         120
        .size:           4
        .value_kind:     by_value
      - .offset:         124
        .size:           4
        .value_kind:     by_value
      - .offset:         128
        .size:           1
        .value_kind:     by_value
    .group_segment_fixed_size: 32768
    .kernarg_segment_align: 8
    .kernarg_segment_size: 132
    .language:       OpenCL C
    .language_version:
      - 2
      - 0
    .max_flat_workgroup_size: 1024
    .name:           _ZN9rocsparseL30bellmm_general_blockdim_kernelILi32ELi32E21rocsparse_complex_numIdEiS2_S2_S2_EEv20rocsparse_operation_S3_20rocsparse_direction_T2_S5_NS_24const_host_device_scalarIT1_EES5_S5_PKS5_PKT3_PKT4_l16rocsparse_order_S8_PT5_lSH_21rocsparse_index_base_b
    .private_segment_fixed_size: 0
    .sgpr_count:     66
    .sgpr_spill_count: 0
    .symbol:         _ZN9rocsparseL30bellmm_general_blockdim_kernelILi32ELi32E21rocsparse_complex_numIdEiS2_S2_S2_EEv20rocsparse_operation_S3_20rocsparse_direction_T2_S5_NS_24const_host_device_scalarIT1_EES5_S5_PKS5_PKT3_PKT4_l16rocsparse_order_S8_PT5_lSH_21rocsparse_index_base_b.kd
    .uniform_work_group_size: 1
    .uses_dynamic_stack: false
    .vgpr_count:     72
    .vgpr_spill_count: 0
    .wavefront_size: 64
  - .agpr_count:     0
    .args:
      - .offset:         0
        .size:           4
        .value_kind:     by_value
      - .offset:         4
        .size:           4
        .value_kind:     by_value
      - .offset:         8
        .size:           4
        .value_kind:     by_value
      - .offset:         16
        .size:           8
        .value_kind:     by_value
      - .offset:         24
        .size:           8
        .value_kind:     by_value
      - .offset:         32
        .size:           16
        .value_kind:     by_value
      - .offset:         48
        .size:           8
        .value_kind:     by_value
      - .offset:         56
        .size:           8
        .value_kind:     by_value
      - .actual_access:  read_only
        .address_space:  global
        .offset:         64
        .size:           8
        .value_kind:     global_buffer
      - .actual_access:  read_only
        .address_space:  global
        .offset:         72
        .size:           8
        .value_kind:     global_buffer
      - .actual_access:  read_only
        .address_space:  global
        .offset:         80
        .size:           8
        .value_kind:     global_buffer
      - .offset:         88
        .size:           8
        .value_kind:     by_value
      - .offset:         96
        .size:           4
        .value_kind:     by_value
      - .offset:         104
        .size:           16
        .value_kind:     by_value
      - .address_space:  global
        .offset:         120
        .size:           8
        .value_kind:     global_buffer
      - .offset:         128
        .size:           8
        .value_kind:     by_value
      - .offset:         136
        .size:           4
        .value_kind:     by_value
      - .offset:         140
        .size:           4
        .value_kind:     by_value
      - .offset:         144
        .size:           1
        .value_kind:     by_value
    .group_segment_fixed_size: 32768
    .kernarg_segment_align: 8
    .kernarg_segment_size: 148
    .language:       OpenCL C
    .language_version:
      - 2
      - 0
    .max_flat_workgroup_size: 1024
    .name:           _ZN9rocsparseL30bellmm_general_blockdim_kernelILi32ELi32E21rocsparse_complex_numIdElS2_S2_S2_EEv20rocsparse_operation_S3_20rocsparse_direction_T2_S5_NS_24const_host_device_scalarIT1_EES5_S5_PKS5_PKT3_PKT4_l16rocsparse_order_S8_PT5_lSH_21rocsparse_index_base_b
    .private_segment_fixed_size: 0
    .sgpr_count:     80
    .sgpr_spill_count: 0
    .symbol:         _ZN9rocsparseL30bellmm_general_blockdim_kernelILi32ELi32E21rocsparse_complex_numIdElS2_S2_S2_EEv20rocsparse_operation_S3_20rocsparse_direction_T2_S5_NS_24const_host_device_scalarIT1_EES5_S5_PKS5_PKT3_PKT4_l16rocsparse_order_S8_PT5_lSH_21rocsparse_index_base_b.kd
    .uniform_work_group_size: 1
    .uses_dynamic_stack: false
    .vgpr_count:     74
    .vgpr_spill_count: 0
    .wavefront_size: 64
amdhsa.target:   amdgcn-amd-amdhsa--gfx950
amdhsa.version:
  - 1
  - 2
...

	.end_amdgpu_metadata
